;; amdgpu-corpus repo=ROCm/rocFFT kind=compiled arch=gfx950 opt=O3
	.text
	.amdgcn_target "amdgcn-amd-amdhsa--gfx950"
	.amdhsa_code_object_version 6
	.protected	fft_rtc_fwd_len2916_factors_6_6_3_3_3_3_wgs_243_tpt_243_halfLds_sp_op_CI_CI_unitstride_sbrr_R2C_dirReg ; -- Begin function fft_rtc_fwd_len2916_factors_6_6_3_3_3_3_wgs_243_tpt_243_halfLds_sp_op_CI_CI_unitstride_sbrr_R2C_dirReg
	.globl	fft_rtc_fwd_len2916_factors_6_6_3_3_3_3_wgs_243_tpt_243_halfLds_sp_op_CI_CI_unitstride_sbrr_R2C_dirReg
	.p2align	8
	.type	fft_rtc_fwd_len2916_factors_6_6_3_3_3_3_wgs_243_tpt_243_halfLds_sp_op_CI_CI_unitstride_sbrr_R2C_dirReg,@function
fft_rtc_fwd_len2916_factors_6_6_3_3_3_3_wgs_243_tpt_243_halfLds_sp_op_CI_CI_unitstride_sbrr_R2C_dirReg: ; @fft_rtc_fwd_len2916_factors_6_6_3_3_3_3_wgs_243_tpt_243_halfLds_sp_op_CI_CI_unitstride_sbrr_R2C_dirReg
; %bb.0:
	s_load_dwordx4 s[4:7], s[0:1], 0x58
	s_load_dwordx4 s[8:11], s[0:1], 0x0
	;; [unrolled: 1-line block ×3, first 2 shown]
	v_mul_u32_u24_e32 v1, 0x10e, v0
	v_add_u32_sdwa v8, s2, v1 dst_sel:DWORD dst_unused:UNUSED_PAD src0_sel:DWORD src1_sel:WORD_1
	v_mov_b32_e32 v6, 0
	s_waitcnt lgkmcnt(0)
	v_cmp_lt_u64_e64 s[2:3], s[10:11], 2
	v_mov_b32_e32 v9, v6
	s_and_b64 vcc, exec, s[2:3]
	v_mov_b64_e32 v[14:15], 0
	s_cbranch_vccnz .LBB0_8
; %bb.1:
	s_load_dwordx2 s[2:3], s[0:1], 0x10
	s_add_u32 s16, s14, 8
	s_addc_u32 s17, s15, 0
	s_add_u32 s18, s12, 8
	s_addc_u32 s19, s13, 0
	s_waitcnt lgkmcnt(0)
	s_add_u32 s20, s2, 8
	v_mov_b64_e32 v[14:15], 0
	s_addc_u32 s21, s3, 0
	s_mov_b64 s[22:23], 1
	v_mov_b64_e32 v[2:3], v[14:15]
.LBB0_2:                                ; =>This Inner Loop Header: Depth=1
	s_load_dwordx2 s[24:25], s[20:21], 0x0
                                        ; implicit-def: $vgpr4_vgpr5
	s_waitcnt lgkmcnt(0)
	v_or_b32_e32 v7, s25, v9
	v_cmp_ne_u64_e32 vcc, 0, v[6:7]
	s_and_saveexec_b64 s[2:3], vcc
	s_xor_b64 s[26:27], exec, s[2:3]
	s_cbranch_execz .LBB0_4
; %bb.3:                                ;   in Loop: Header=BB0_2 Depth=1
	v_cvt_f32_u32_e32 v1, s24
	v_cvt_f32_u32_e32 v4, s25
	s_sub_u32 s2, 0, s24
	s_subb_u32 s3, 0, s25
	v_fmac_f32_e32 v1, 0x4f800000, v4
	v_rcp_f32_e32 v1, v1
	s_nop 0
	v_mul_f32_e32 v1, 0x5f7ffffc, v1
	v_mul_f32_e32 v4, 0x2f800000, v1
	v_trunc_f32_e32 v4, v4
	v_fmac_f32_e32 v1, 0xcf800000, v4
	v_cvt_u32_f32_e32 v7, v4
	v_cvt_u32_f32_e32 v1, v1
	v_mul_lo_u32 v4, s2, v7
	v_mul_hi_u32 v10, s2, v1
	v_mul_lo_u32 v5, s3, v1
	v_add_u32_e32 v10, v10, v4
	v_mul_lo_u32 v12, s2, v1
	v_add_u32_e32 v13, v10, v5
	v_mul_hi_u32 v4, v1, v12
	v_mul_hi_u32 v11, v1, v13
	v_mul_lo_u32 v10, v1, v13
	v_mov_b32_e32 v5, v6
	v_lshl_add_u64 v[4:5], v[4:5], 0, v[10:11]
	v_mul_hi_u32 v11, v7, v12
	v_mul_lo_u32 v12, v7, v12
	v_add_co_u32_e32 v4, vcc, v4, v12
	v_mul_hi_u32 v10, v7, v13
	s_nop 0
	v_addc_co_u32_e32 v4, vcc, v5, v11, vcc
	v_mov_b32_e32 v5, v6
	s_nop 0
	v_addc_co_u32_e32 v11, vcc, 0, v10, vcc
	v_mul_lo_u32 v10, v7, v13
	v_lshl_add_u64 v[4:5], v[4:5], 0, v[10:11]
	v_add_co_u32_e32 v1, vcc, v1, v4
	v_mul_lo_u32 v10, s2, v1
	s_nop 0
	v_addc_co_u32_e32 v7, vcc, v7, v5, vcc
	v_mul_lo_u32 v4, s2, v7
	v_mul_hi_u32 v5, s2, v1
	v_add_u32_e32 v4, v5, v4
	v_mul_lo_u32 v5, s3, v1
	v_add_u32_e32 v12, v4, v5
	v_mul_hi_u32 v16, v7, v10
	v_mul_lo_u32 v17, v7, v10
	v_mul_hi_u32 v5, v1, v12
	v_mul_lo_u32 v4, v1, v12
	v_mul_hi_u32 v10, v1, v10
	v_mov_b32_e32 v11, v6
	v_lshl_add_u64 v[4:5], v[10:11], 0, v[4:5]
	v_add_co_u32_e32 v4, vcc, v4, v17
	v_mul_hi_u32 v13, v7, v12
	s_nop 0
	v_addc_co_u32_e32 v4, vcc, v5, v16, vcc
	v_mul_lo_u32 v10, v7, v12
	s_nop 0
	v_addc_co_u32_e32 v11, vcc, 0, v13, vcc
	v_mov_b32_e32 v5, v6
	v_lshl_add_u64 v[4:5], v[4:5], 0, v[10:11]
	v_add_co_u32_e32 v1, vcc, v1, v4
	v_mul_hi_u32 v10, v8, v1
	s_nop 0
	v_addc_co_u32_e32 v7, vcc, v7, v5, vcc
	v_mad_u64_u32 v[4:5], s[2:3], v8, v7, 0
	v_mov_b32_e32 v11, v6
	v_lshl_add_u64 v[4:5], v[10:11], 0, v[4:5]
	v_mad_u64_u32 v[12:13], s[2:3], v9, v1, 0
	v_add_co_u32_e32 v1, vcc, v4, v12
	v_mad_u64_u32 v[10:11], s[2:3], v9, v7, 0
	s_nop 0
	v_addc_co_u32_e32 v4, vcc, v5, v13, vcc
	v_mov_b32_e32 v5, v6
	s_nop 0
	v_addc_co_u32_e32 v11, vcc, 0, v11, vcc
	v_lshl_add_u64 v[4:5], v[4:5], 0, v[10:11]
	v_mul_lo_u32 v1, s25, v4
	v_mul_lo_u32 v7, s24, v5
	v_mad_u64_u32 v[10:11], s[2:3], s24, v4, 0
	v_add3_u32 v1, v11, v7, v1
	v_sub_u32_e32 v7, v9, v1
	v_mov_b32_e32 v11, s25
	v_sub_co_u32_e32 v16, vcc, v8, v10
	v_lshl_add_u64 v[12:13], v[4:5], 0, 1
	s_nop 0
	v_subb_co_u32_e64 v7, s[2:3], v7, v11, vcc
	v_subrev_co_u32_e64 v10, s[2:3], s24, v16
	v_subb_co_u32_e32 v1, vcc, v9, v1, vcc
	s_nop 0
	v_subbrev_co_u32_e64 v7, s[2:3], 0, v7, s[2:3]
	v_cmp_le_u32_e64 s[2:3], s25, v7
	v_cmp_le_u32_e32 vcc, s25, v1
	s_nop 0
	v_cndmask_b32_e64 v11, 0, -1, s[2:3]
	v_cmp_le_u32_e64 s[2:3], s24, v10
	s_nop 1
	v_cndmask_b32_e64 v10, 0, -1, s[2:3]
	v_cmp_eq_u32_e64 s[2:3], s25, v7
	s_nop 1
	v_cndmask_b32_e64 v7, v11, v10, s[2:3]
	v_lshl_add_u64 v[10:11], v[4:5], 0, 2
	v_cmp_ne_u32_e64 s[2:3], 0, v7
	s_nop 1
	v_cndmask_b32_e64 v7, v13, v11, s[2:3]
	v_cndmask_b32_e64 v11, 0, -1, vcc
	v_cmp_le_u32_e32 vcc, s24, v16
	s_nop 1
	v_cndmask_b32_e64 v13, 0, -1, vcc
	v_cmp_eq_u32_e32 vcc, s25, v1
	s_nop 1
	v_cndmask_b32_e32 v1, v11, v13, vcc
	v_cmp_ne_u32_e32 vcc, 0, v1
	v_cndmask_b32_e64 v1, v12, v10, s[2:3]
	s_nop 0
	v_cndmask_b32_e32 v5, v5, v7, vcc
	v_cndmask_b32_e32 v4, v4, v1, vcc
.LBB0_4:                                ;   in Loop: Header=BB0_2 Depth=1
	s_andn2_saveexec_b64 s[2:3], s[26:27]
	s_cbranch_execz .LBB0_6
; %bb.5:                                ;   in Loop: Header=BB0_2 Depth=1
	v_cvt_f32_u32_e32 v1, s24
	s_sub_i32 s26, 0, s24
	v_rcp_iflag_f32_e32 v1, v1
	s_nop 0
	v_mul_f32_e32 v1, 0x4f7ffffe, v1
	v_cvt_u32_f32_e32 v1, v1
	v_mul_lo_u32 v4, s26, v1
	v_mul_hi_u32 v4, v1, v4
	v_add_u32_e32 v1, v1, v4
	v_mul_hi_u32 v1, v8, v1
	v_mul_lo_u32 v4, v1, s24
	v_sub_u32_e32 v4, v8, v4
	v_add_u32_e32 v5, 1, v1
	v_subrev_u32_e32 v7, s24, v4
	v_cmp_le_u32_e32 vcc, s24, v4
	s_nop 1
	v_cndmask_b32_e32 v4, v4, v7, vcc
	v_cndmask_b32_e32 v1, v1, v5, vcc
	v_add_u32_e32 v5, 1, v1
	v_cmp_le_u32_e32 vcc, s24, v4
	s_nop 1
	v_cndmask_b32_e32 v4, v1, v5, vcc
	v_mov_b32_e32 v5, v6
.LBB0_6:                                ;   in Loop: Header=BB0_2 Depth=1
	s_or_b64 exec, exec, s[2:3]
	v_mad_u64_u32 v[10:11], s[2:3], v4, s24, 0
	s_load_dwordx2 s[2:3], s[18:19], 0x0
	v_mul_lo_u32 v1, v5, s24
	v_mul_lo_u32 v7, v4, s25
	s_load_dwordx2 s[24:25], s[16:17], 0x0
	s_add_u32 s22, s22, 1
	v_add3_u32 v1, v11, v7, v1
	v_sub_co_u32_e32 v7, vcc, v8, v10
	s_addc_u32 s23, s23, 0
	s_nop 0
	v_subb_co_u32_e32 v1, vcc, v9, v1, vcc
	s_add_u32 s16, s16, 8
	s_waitcnt lgkmcnt(0)
	v_mul_lo_u32 v8, s2, v1
	v_mul_lo_u32 v9, s3, v7
	v_mad_u64_u32 v[14:15], s[2:3], s2, v7, v[14:15]
	s_addc_u32 s17, s17, 0
	v_add3_u32 v15, v9, v15, v8
	v_mul_lo_u32 v1, s24, v1
	v_mul_lo_u32 v8, s25, v7
	v_mad_u64_u32 v[2:3], s[2:3], s24, v7, v[2:3]
	s_add_u32 s18, s18, 8
	v_add3_u32 v3, v8, v3, v1
	s_addc_u32 s19, s19, 0
	v_mov_b64_e32 v[8:9], s[10:11]
	s_add_u32 s20, s20, 8
	v_cmp_ge_u64_e32 vcc, s[22:23], v[8:9]
	s_addc_u32 s21, s21, 0
	s_cbranch_vccnz .LBB0_9
; %bb.7:                                ;   in Loop: Header=BB0_2 Depth=1
	v_mov_b64_e32 v[8:9], v[4:5]
	s_branch .LBB0_2
.LBB0_8:
	v_mov_b64_e32 v[2:3], v[14:15]
	v_mov_b64_e32 v[4:5], v[8:9]
.LBB0_9:
	s_load_dwordx2 s[18:19], s[0:1], 0x28
	s_lshl_b64 s[16:17], s[10:11], 3
	s_add_u32 s2, s14, s16
	s_addc_u32 s3, s15, s17
                                        ; implicit-def: $vgpr10_vgpr11
                                        ; implicit-def: $vgpr6
                                        ; implicit-def: $vgpr8
                                        ; implicit-def: $vgpr12
	s_waitcnt lgkmcnt(0)
	v_cmp_gt_u64_e64 s[0:1], s[18:19], v[4:5]
	v_cmp_le_u64_e32 vcc, s[18:19], v[4:5]
	s_and_saveexec_b64 s[10:11], vcc
	s_xor_b64 s[10:11], exec, s[10:11]
; %bb.10:
	s_mov_b32 s14, 0x10db20b
	v_mul_hi_u32 v1, v0, s14
	v_mul_u32_u24_e32 v1, 0xf3, v1
	v_sub_u32_e32 v6, v0, v1
	v_add_u32_e32 v11, 0x2d9, v6
	v_add_u32_e32 v8, 0xf3, v6
	;; [unrolled: 1-line block ×3, first 2 shown]
	v_mov_b32_e32 v12, v11
                                        ; implicit-def: $vgpr0
                                        ; implicit-def: $vgpr14_vgpr15
; %bb.11:
	s_andn2_saveexec_b64 s[10:11], s[10:11]
	s_cbranch_execz .LBB0_13
; %bb.12:
	s_add_u32 s12, s12, s16
	s_addc_u32 s13, s13, s17
	s_load_dwordx2 s[12:13], s[12:13], 0x0
	s_mov_b32 s14, 0x10db20b
	s_waitcnt lgkmcnt(0)
	v_mul_lo_u32 v1, s13, v4
	v_mul_lo_u32 v6, s12, v5
	v_mad_u64_u32 v[8:9], s[12:13], s12, v4, 0
	v_add3_u32 v9, v9, v6, v1
	v_mul_hi_u32 v1, v0, s14
	v_mul_u32_u24_e32 v1, 0xf3, v1
	v_sub_u32_e32 v6, v0, v1
	v_lshl_add_u64 v[0:1], v[8:9], 3, s[4:5]
	v_lshl_add_u64 v[0:1], v[14:15], 3, v[0:1]
	v_lshlrev_b32_e32 v8, 3, v6
	v_mov_b32_e32 v9, 0
	v_add_u32_e32 v10, 0x1e6, v6
	v_lshl_add_u64 v[12:13], v[0:1], 0, v[8:9]
	v_add_u32_e32 v7, 0, v8
	v_add_u32_e32 v11, 0x2d9, v6
	v_mov_b32_e32 v8, v10
	v_lshl_add_u64 v[14:15], v[8:9], 3, v[0:1]
	v_mov_b32_e32 v8, v11
	v_lshl_add_u64 v[0:1], v[8:9], 3, v[0:1]
	s_movk_i32 s4, 0x1000
	global_load_dwordx2 v[16:17], v[12:13], off
	global_load_dwordx2 v[18:19], v[12:13], off offset:1944
	global_load_dwordx2 v[20:21], v[14:15], off
	global_load_dwordx2 v[22:23], v[0:1], off
	v_add_co_u32_e32 v0, vcc, s4, v12
	s_movk_i32 s4, 0x2000
	s_nop 0
	v_addc_co_u32_e32 v1, vcc, 0, v13, vcc
	v_add_co_u32_e32 v8, vcc, s4, v12
	s_movk_i32 s4, 0x3000
	s_nop 0
	v_addc_co_u32_e32 v9, vcc, 0, v13, vcc
	v_add_co_u32_e32 v14, vcc, s4, v12
	v_add_u32_e32 v38, 0x4bc0, v7
	s_nop 0
	v_addc_co_u32_e32 v15, vcc, 0, v13, vcc
	global_load_dwordx2 v[24:25], v[0:1], off offset:3680
	global_load_dwordx2 v[26:27], v[8:9], off offset:1528
	;; [unrolled: 1-line block ×4, first 2 shown]
	v_add_co_u32_e32 v0, vcc, 0x4000, v12
	s_nop 1
	v_addc_co_u32_e32 v1, vcc, 0, v13, vcc
	v_add_co_u32_e32 v8, vcc, 0x5000, v12
	s_nop 1
	v_addc_co_u32_e32 v9, vcc, 0, v13, vcc
	global_load_dwordx2 v[12:13], v[14:15], off offset:3264
	global_load_dwordx2 v[32:33], v[0:1], off offset:1112
	;; [unrolled: 1-line block ×4, first 2 shown]
	v_add_u32_e32 v8, 0xf3, v6
	v_lshl_add_u32 v0, v10, 3, 0
	v_lshl_add_u32 v1, v11, 3, 0
	v_add_u32_e32 v9, 0x1e00, v7
	v_add_u32_e32 v14, 0x2d80, v7
	;; [unrolled: 1-line block ×3, first 2 shown]
	s_waitcnt vmcnt(10)
	ds_write2_b64 v7, v[16:17], v[18:19] offset1:243
	s_waitcnt vmcnt(9)
	ds_write_b64 v0, v[20:21]
	s_waitcnt vmcnt(8)
	ds_write_b64 v1, v[22:23]
	s_waitcnt vmcnt(6)
	ds_write2_b64 v9, v[24:25], v[26:27] offset0:12 offset1:255
	s_waitcnt vmcnt(4)
	ds_write2_b64 v14, v[28:29], v[30:31] offset0:2 offset1:245
	s_waitcnt vmcnt(2)
	ds_write2_b64 v15, v[12:13], v[32:33] offset0:8 offset1:251
	s_waitcnt vmcnt(0)
	ds_write2_b64 v38, v[34:35], v[36:37] offset0:6 offset1:249
	v_mov_b32_e32 v12, v11
.LBB0_13:
	s_or_b64 exec, exec, s[10:11]
	v_lshlrev_b32_e32 v7, 3, v6
	v_add_u32_e32 v20, 0, v7
	v_add_u32_e32 v13, 0x1e00, v20
	v_add_u32_e32 v15, 0x3c80, v20
	s_load_dwordx2 s[2:3], s[2:3], 0x0
	s_waitcnt lgkmcnt(0)
	s_barrier
	ds_read2_b64 v[26:29], v13 offset0:12 offset1:255
	v_add_u32_e32 v14, 0x2d80, v20
	ds_read2_b64 v[34:37], v15 offset0:8 offset1:251
	v_add_u32_e32 v9, 0x4bc0, v20
	ds_read2_b64 v[16:19], v20 offset1:243
	v_add_u32_e32 v1, 0xf00, v20
	ds_read2_b64 v[30:33], v14 offset0:2 offset1:245
	ds_read2_b64 v[38:41], v9 offset0:6 offset1:249
	ds_read2_b64 v[22:25], v1 offset0:6 offset1:249
	v_mul_i32_i24_e32 v0, 6, v8
	s_waitcnt lgkmcnt(4)
	v_pk_add_f32 v[46:47], v[26:27], v[34:35]
	v_lshl_add_u32 v21, v0, 3, 0
	s_waitcnt lgkmcnt(3)
	v_pk_add_f32 v[0:1], v[16:17], v[26:27]
	v_pk_fma_f32 v[16:17], v[46:47], 0.5, v[16:17] op_sel_hi:[1,0,1] neg_lo:[1,0,0] neg_hi:[1,0,0]
	s_mov_b32 s4, 0x3f5db3d7
	s_waitcnt lgkmcnt(1)
	v_pk_add_f32 v[46:47], v[30:31], v[38:39]
	s_waitcnt lgkmcnt(0)
	v_pk_add_f32 v[42:43], v[22:23], v[30:31]
	s_mov_b32 s5, 0xbf5db3d7
	v_pk_fma_f32 v[22:23], v[46:47], 0.5, v[22:23] op_sel_hi:[1,0,1] neg_lo:[1,0,0] neg_hi:[1,0,0]
	v_pk_add_f32 v[30:31], v[30:31], v[38:39] neg_lo:[0,1] neg_hi:[0,1]
	v_pk_add_f32 v[42:43], v[42:43], v[38:39]
	v_pk_fma_f32 v[38:39], v[30:31], s[4:5], v[22:23] op_sel:[0,0,1] op_sel_hi:[1,0,0]
	s_mov_b32 s10, 0.5
	s_mov_b32 s11, s4
	v_pk_add_f32 v[26:27], v[26:27], v[34:35] neg_lo:[0,1] neg_hi:[0,1]
	v_pk_fma_f32 v[22:23], v[30:31], s[4:5], v[22:23] op_sel:[0,0,1] op_sel_hi:[1,0,0] neg_lo:[1,0,0] neg_hi:[1,0,0]
	v_pk_mul_f32 v[30:31], v[38:39], s[10:11] op_sel:[1,0]
	s_mov_b32 s12, s4
	s_mov_b32 s13, s10
	v_pk_mul_f32 v[26:27], v[26:27], s[4:5] op_sel_hi:[1,0]
	v_pk_fma_f32 v[46:47], v[22:23], s[12:13], v[30:31]
	v_pk_fma_f32 v[30:31], v[22:23], s[12:13], v[30:31] op_sel_hi:[0,1,1] neg_lo:[0,0,1] neg_hi:[0,0,1]
	v_mov_b32_e32 v22, v38
	v_pk_add_f32 v[0:1], v[0:1], v[34:35]
	v_pk_add_f32 v[34:35], v[16:17], v[26:27] op_sel:[0,1] op_sel_hi:[1,0]
	v_pk_add_f32 v[16:17], v[16:17], v[26:27] op_sel:[0,1] op_sel_hi:[1,0] neg_lo:[0,1] neg_hi:[0,1]
	v_pk_mul_f32 v[38:39], v[22:23], 0.5 op_sel_hi:[1,0]
	v_mov_b32_e32 v27, v17
	v_pk_fma_f32 v[22:23], v[22:23], s[4:5], v[38:39] op_sel:[0,0,1] op_sel_hi:[1,1,0] neg_lo:[0,0,1] neg_hi:[0,0,1]
	v_mov_b32_e32 v17, v35
	v_mad_u32_u24 v48, v6, 40, v20
	v_pk_add_f32 v[44:45], v[0:1], v[42:43]
	v_mov_b32_e32 v26, v34
	v_mov_b32_e32 v47, v31
	v_pk_add_f32 v[34:35], v[16:17], v[22:23]
	v_pk_add_f32 v[0:1], v[0:1], v[42:43] neg_lo:[0,1] neg_hi:[0,1]
	s_barrier
	ds_write2_b64 v48, v[34:35], v[0:1] offset0:2 offset1:3
	v_pk_add_f32 v[0:1], v[26:27], v[46:47] neg_lo:[0,1] neg_hi:[0,1]
	v_pk_add_f32 v[16:17], v[16:17], v[22:23] neg_lo:[0,1] neg_hi:[0,1]
	v_pk_add_f32 v[30:31], v[26:27], v[46:47]
	ds_write2_b64 v48, v[0:1], v[16:17] offset0:4 offset1:5
	v_pk_add_f32 v[0:1], v[28:29], v[36:37]
	v_pk_add_f32 v[16:17], v[28:29], v[36:37] neg_lo:[0,1] neg_hi:[0,1]
	v_pk_add_f32 v[22:23], v[32:33], v[40:41]
	ds_write2_b64 v48, v[44:45], v[30:31] offset1:1
	v_pk_add_f32 v[44:45], v[24:25], v[32:33]
	v_pk_fma_f32 v[0:1], v[0:1], 0.5, v[18:19] op_sel_hi:[1,0,1] neg_lo:[1,0,0] neg_hi:[1,0,0]
	v_pk_mul_f32 v[16:17], v[16:17], s[4:5] op_sel_hi:[1,0]
	v_pk_fma_f32 v[22:23], v[22:23], 0.5, v[24:25] op_sel_hi:[1,0,1] neg_lo:[1,0,0] neg_hi:[1,0,0]
	v_pk_add_f32 v[24:25], v[32:33], v[40:41] neg_lo:[0,1] neg_hi:[0,1]
	v_pk_add_f32 v[30:31], v[18:19], v[28:29]
	v_pk_add_f32 v[18:19], v[0:1], v[16:17] op_sel:[0,1] op_sel_hi:[1,0]
	v_pk_add_f32 v[0:1], v[0:1], v[16:17] op_sel:[0,1] op_sel_hi:[1,0] neg_lo:[0,1] neg_hi:[0,1]
	v_pk_fma_f32 v[26:27], v[24:25], s[4:5], v[22:23] op_sel:[0,0,1] op_sel_hi:[1,0,0]
	v_pk_fma_f32 v[22:23], v[24:25], s[4:5], v[22:23] op_sel:[0,0,1] op_sel_hi:[1,0,0] neg_lo:[1,0,0] neg_hi:[1,0,0]
	v_mov_b32_e32 v16, v18
	v_mov_b32_e32 v17, v1
	;; [unrolled: 1-line block ×5, first 2 shown]
	v_pk_mul_f32 v[18:19], v[26:27], s[10:11] op_sel:[1,0]
	v_pk_mul_f32 v[28:29], v[24:25], 0.5 op_sel_hi:[1,0]
	v_pk_fma_f32 v[26:27], v[22:23], s[12:13], v[18:19]
	v_pk_fma_f32 v[18:19], v[22:23], s[12:13], v[18:19] op_sel_hi:[0,1,1] neg_lo:[0,0,1] neg_hi:[0,0,1]
	v_pk_fma_f32 v[24:25], v[24:25], s[4:5], v[28:29] op_sel:[0,0,1] op_sel_hi:[1,1,0] neg_lo:[0,0,1] neg_hi:[0,0,1]
	v_mov_b32_e32 v27, v19
	v_pk_add_f32 v[18:19], v[16:17], v[26:27]
	v_pk_add_f32 v[22:23], v[0:1], v[24:25]
	v_pk_add_f32 v[16:17], v[16:17], v[26:27] neg_lo:[0,1] neg_hi:[0,1]
	v_pk_add_f32 v[0:1], v[0:1], v[24:25] neg_lo:[0,1] neg_hi:[0,1]
	s_movk_i32 s10, 0xab
	v_pk_add_f32 v[30:31], v[30:31], v[36:37]
	v_pk_add_f32 v[44:45], v[44:45], v[40:41]
	ds_write2_b64 v21, v[16:17], v[0:1] offset0:4 offset1:5
	v_mul_lo_u16_sdwa v0, v6, s10 dst_sel:DWORD dst_unused:UNUSED_PAD src0_sel:BYTE_0 src1_sel:DWORD
	v_pk_add_f32 v[38:39], v[30:31], v[44:45]
	v_lshrrev_b16_e32 v17, 10, v0
	ds_write2_b64 v21, v[38:39], v[18:19] offset1:1
	v_pk_add_f32 v[18:19], v[30:31], v[44:45] neg_lo:[0,1] neg_hi:[0,1]
	v_mul_lo_u16_e32 v0, 6, v17
	ds_write2_b64 v21, v[22:23], v[18:19] offset0:2 offset1:3
	v_sub_u16_e32 v23, v6, v0
	v_mov_b32_e32 v0, 5
	v_mul_u32_u24_sdwa v0, v23, v0 dst_sel:DWORD dst_unused:UNUSED_PAD src0_sel:BYTE_0 src1_sel:DWORD
	s_mov_b32 s10, 0xaaab
	v_lshlrev_b32_e32 v50, 3, v0
	v_mul_u32_u24_sdwa v0, v8, s10 dst_sel:DWORD dst_unused:UNUSED_PAD src0_sel:WORD_0 src1_sel:DWORD
	v_lshrrev_b32_e32 v68, 18, v0
	v_mul_lo_u16_e32 v0, 6, v68
	s_waitcnt lgkmcnt(0)
	s_barrier
	global_load_dwordx4 v[24:27], v50, s[8:9]
	v_sub_u16_e32 v69, v8, v0
	v_mul_u32_u24_e32 v0, 5, v69
	v_lshlrev_b32_e32 v64, 3, v0
	global_load_dwordx4 v[28:31], v64, s[8:9]
	global_load_dwordx4 v[32:35], v50, s[8:9] offset:16
	v_add_u32_e32 v0, 0x1680, v20
	ds_read2_b64 v[36:39], v0 offset0:9 offset1:252
	v_add_u32_e32 v0, 0x25c0, v20
	v_lshl_add_u32 v22, v10, 3, 0
	ds_read2_b64 v[40:43], v0 offset0:7 offset1:250
	v_add_u32_e32 v0, 0x3500, v20
	ds_read2_b64 v[44:47], v0 offset0:5 offset1:248
	ds_read_b64 v[0:1], v22
	s_movk_i32 s10, 0xffd8
	v_mad_i32_i24 v16, v8, s10, v21
	ds_read_b64 v[18:19], v16
	ds_read_b64 v[48:49], v20 offset:21384
	global_load_dwordx2 v[50:51], v50, s[8:9] offset:32
	s_mov_b32 s10, 0xe38f
	s_movk_i32 s11, 0x360
	s_waitcnt vmcnt(3) lgkmcnt(2)
	v_pk_mul_f32 v[52:53], v[24:25], v[0:1] op_sel:[0,1]
	s_nop 0
	v_pk_fma_f32 v[54:55], v[24:25], v[0:1], v[52:53] op_sel:[0,0,1] op_sel_hi:[1,1,0] neg_lo:[0,0,1] neg_hi:[0,0,1]
	v_pk_fma_f32 v[0:1], v[24:25], v[0:1], v[52:53] op_sel:[0,0,1] op_sel_hi:[1,0,0]
	v_pk_mul_f32 v[24:25], v[26:27], v[38:39] op_sel:[0,1]
	s_waitcnt vmcnt(2)
	v_mov_b32_e32 v0, v31
	v_pk_fma_f32 v[52:53], v[26:27], v[38:39], v[24:25] op_sel:[0,0,1] op_sel_hi:[1,1,0] neg_lo:[0,0,1] neg_hi:[0,0,1]
	v_pk_fma_f32 v[38:39], v[26:27], v[38:39], v[24:25] op_sel:[0,0,1] op_sel_hi:[1,0,0]
	v_pk_mul_f32 v[24:25], v[36:37], v[28:29] op_sel:[0,1]
	v_mov_b32_e32 v53, v39
	v_pk_fma_f32 v[56:57], v[36:37], v[28:29], v[24:25] op_sel:[0,0,1] op_sel_hi:[1,1,0] neg_lo:[0,0,1] neg_hi:[0,0,1]
	v_pk_fma_f32 v[36:37], v[36:37], v[28:29], v[24:25] op_sel:[0,0,1] op_sel_hi:[1,0,0]
	v_pk_mul_f32 v[24:25], v[40:41], v[0:1] op_sel_hi:[1,0]
	v_mov_b32_e32 v55, v1
	v_pk_fma_f32 v[58:59], v[40:41], v[30:31], v[24:25] op_sel:[0,0,1] op_sel_hi:[1,1,0] neg_lo:[0,0,1] neg_hi:[0,0,1]
	v_pk_fma_f32 v[40:41], v[40:41], v[30:31], v[24:25] op_sel:[0,0,1] op_sel_hi:[1,0,0]
	s_waitcnt vmcnt(1)
	v_pk_mul_f32 v[24:25], v[32:33], v[42:43] op_sel:[0,1]
	v_mov_b32_e32 v57, v37
	v_pk_fma_f32 v[60:61], v[32:33], v[42:43], v[24:25] op_sel:[0,0,1] op_sel_hi:[1,1,0] neg_lo:[0,0,1] neg_hi:[0,0,1]
	v_pk_fma_f32 v[32:33], v[32:33], v[42:43], v[24:25] op_sel:[0,0,1] op_sel_hi:[1,0,0]
	v_pk_mul_f32 v[24:25], v[34:35], v[46:47] op_sel:[0,1]
	v_mov_b32_e32 v61, v33
	v_pk_fma_f32 v[42:43], v[34:35], v[46:47], v[24:25] op_sel:[0,0,1] op_sel_hi:[1,1,0] neg_lo:[0,0,1] neg_hi:[0,0,1]
	v_pk_fma_f32 v[34:35], v[34:35], v[46:47], v[24:25] op_sel:[0,0,1] op_sel_hi:[1,0,0]
	global_load_dwordx4 v[24:27], v64, s[8:9] offset:16
	v_mov_b32_e32 v43, v35
	v_pk_add_f32 v[36:37], v[52:53], v[42:43]
	v_pk_add_f32 v[38:39], v[52:53], v[42:43] neg_lo:[0,1] neg_hi:[0,1]
	v_mov_b32_e32 v59, v41
	v_pk_mul_f32 v[38:39], v[38:39], s[4:5] op_sel_hi:[1,0]
	s_waitcnt vmcnt(0)
	v_pk_mul_f32 v[28:29], v[44:45], v[24:25] op_sel:[0,1]
	s_nop 0
	v_pk_fma_f32 v[46:47], v[44:45], v[24:25], v[28:29] op_sel:[0,0,1] op_sel_hi:[1,1,0] neg_lo:[0,0,1] neg_hi:[0,0,1]
	v_pk_fma_f32 v[24:25], v[44:45], v[24:25], v[28:29] op_sel:[0,0,1] op_sel_hi:[1,0,0]
	v_mov_b32_e32 v0, v27
	v_add_u32_e32 v24, 0x4400, v20
	ds_read2_b64 v[28:31], v24 offset0:11 offset1:254
	v_mov_b32_e32 v47, v25
	v_lshlrev_b32_e32 v24, 3, v69
	s_waitcnt lgkmcnt(0)
	v_pk_mul_f32 v[44:45], v[28:29], v[0:1] op_sel_hi:[1,0]
	s_nop 0
	v_pk_fma_f32 v[62:63], v[28:29], v[26:27], v[44:45] op_sel:[0,0,1] op_sel_hi:[1,1,0] neg_lo:[0,0,1] neg_hi:[0,0,1]
	v_pk_fma_f32 v[26:27], v[28:29], v[26:27], v[44:45] op_sel:[0,0,1] op_sel_hi:[1,0,0]
	global_load_dwordx2 v[28:29], v64, s[8:9] offset:32
	ds_read_b64 v[44:45], v20
	v_mul_u32_u24_e32 v0, 0x120, v17
	v_mov_b32_e32 v17, 3
	v_lshlrev_b32_sdwa v23, v17, v23 dst_sel:DWORD dst_unused:UNUSED_PAD src0_sel:DWORD src1_sel:BYTE_0
	v_add3_u32 v23, 0, v0, v23
	s_waitcnt lgkmcnt(0)
	v_pk_fma_f32 v[36:37], v[36:37], 0.5, v[44:45] op_sel_hi:[1,0,1] neg_lo:[1,0,0] neg_hi:[1,0,0]
	v_mov_b32_e32 v63, v27
	v_pk_add_f32 v[40:41], v[38:39], v[36:37] op_sel:[1,0] op_sel_hi:[0,1]
	v_pk_add_f32 v[36:37], v[36:37], v[38:39] op_sel:[0,1] op_sel_hi:[1,0] neg_lo:[0,1] neg_hi:[0,1]
	v_mov_b32_e32 v39, v41
	v_mov_b32_e32 v38, v36
	s_barrier
	v_mul_u32_u24_e32 v0, 0x120, v68
	v_pk_add_f32 v[26:27], v[56:57], v[46:47]
	s_waitcnt vmcnt(0)
	v_pk_mul_f32 v[64:65], v[48:49], v[28:29] op_sel:[0,1]
	s_nop 0
	v_pk_fma_f32 v[66:67], v[48:49], v[28:29], v[64:65] op_sel:[0,0,1] op_sel_hi:[1,1,0] neg_lo:[0,0,1] neg_hi:[0,0,1]
	v_pk_fma_f32 v[28:29], v[48:49], v[28:29], v[64:65] op_sel:[0,0,1] op_sel_hi:[1,0,0]
	v_add3_u32 v48, 0, v0, v24
	v_mov_b32_e32 v67, v29
	v_pk_mul_f32 v[28:29], v[50:51], v[30:31] op_sel:[0,1]
	v_pk_add_f32 v[24:25], v[18:19], v[58:59]
	v_pk_fma_f32 v[32:33], v[50:51], v[30:31], v[28:29] op_sel:[0,0,1] op_sel_hi:[1,1,0] neg_lo:[0,0,1] neg_hi:[0,0,1]
	v_pk_fma_f32 v[28:29], v[50:51], v[30:31], v[28:29] op_sel:[0,0,1] op_sel_hi:[1,0,0]
	v_pk_add_f32 v[30:31], v[54:55], v[60:61]
	v_mov_b32_e32 v33, v29
	v_pk_add_f32 v[28:29], v[44:45], v[52:53]
	v_pk_add_f32 v[30:31], v[30:31], v[32:33]
	;; [unrolled: 1-line block ×4, first 2 shown]
	v_pk_add_f32 v[32:33], v[60:61], v[32:33] neg_lo:[0,1] neg_hi:[0,1]
	v_pk_fma_f32 v[42:43], v[42:43], 0.5, v[54:55] op_sel_hi:[1,0,1] neg_lo:[1,0,0] neg_hi:[1,0,0]
	v_pk_add_f32 v[34:35], v[28:29], v[30:31]
	v_pk_fma_f32 v[44:45], v[32:33], s[4:5], v[42:43] op_sel:[0,0,1] op_sel_hi:[1,0,0]
	v_pk_fma_f32 v[32:33], v[32:33], s[4:5], v[42:43] op_sel:[0,0,1] op_sel_hi:[1,0,0] neg_lo:[1,0,0] neg_hi:[1,0,0]
	v_mov_b32_e32 v42, v44
	v_mov_b32_e32 v43, v33
	v_mul_f32_e32 v41, 0xbf5db3d7, v45
	v_mul_f32_e32 v36, 0x3f5db3d7, v32
	v_fmac_f32_e32 v41, 0.5, v32
	v_pk_mul_f32 v[32:33], v[42:43], 0.5 op_sel_hi:[1,0]
	v_fmac_f32_e32 v36, 0.5, v45
	v_pk_fma_f32 v[32:33], v[42:43], s[4:5], v[32:33] op_sel:[0,0,1] op_sel_hi:[1,1,0] neg_lo:[0,0,1] neg_hi:[0,0,1]
	v_pk_add_f32 v[28:29], v[28:29], v[30:31] neg_lo:[0,1] neg_hi:[0,1]
	v_pk_add_f32 v[42:43], v[38:39], v[32:33]
	v_add_f32_e32 v44, v40, v36
	v_add_f32_e32 v45, v37, v41
	v_sub_f32_e32 v36, v40, v36
	v_sub_f32_e32 v37, v37, v41
	ds_write2_b64 v23, v[42:43], v[28:29] offset0:12 offset1:18
	v_pk_add_f32 v[28:29], v[38:39], v[32:33] neg_lo:[0,1] neg_hi:[0,1]
	ds_write2_b64 v23, v[36:37], v[28:29] offset0:24 offset1:30
	v_pk_add_f32 v[28:29], v[58:59], v[62:63]
	v_pk_add_f32 v[32:33], v[46:47], v[66:67]
	v_pk_fma_f32 v[18:19], v[28:29], 0.5, v[18:19] op_sel_hi:[1,0,1] neg_lo:[1,0,0] neg_hi:[1,0,0]
	v_pk_add_f32 v[28:29], v[58:59], v[62:63] neg_lo:[0,1] neg_hi:[0,1]
	ds_write2_b64 v23, v[34:35], v[44:45] offset1:6
	v_pk_mul_f32 v[28:29], v[28:29], s[4:5] op_sel_hi:[1,0]
	v_pk_fma_f32 v[32:33], v[32:33], 0.5, v[56:57] op_sel_hi:[1,0,1] neg_lo:[1,0,0] neg_hi:[1,0,0]
	v_pk_add_f32 v[34:35], v[46:47], v[66:67] neg_lo:[0,1] neg_hi:[0,1]
	v_pk_add_f32 v[30:31], v[28:29], v[18:19] op_sel:[1,0] op_sel_hi:[0,1]
	v_pk_add_f32 v[18:19], v[18:19], v[28:29] op_sel:[0,1] op_sel_hi:[1,0] neg_lo:[0,1] neg_hi:[0,1]
	v_pk_fma_f32 v[36:37], v[34:35], s[4:5], v[32:33] op_sel:[0,0,1] op_sel_hi:[1,0,0]
	v_pk_fma_f32 v[32:33], v[34:35], s[4:5], v[32:33] op_sel:[0,0,1] op_sel_hi:[1,0,0] neg_lo:[1,0,0] neg_hi:[1,0,0]
	v_mov_b32_e32 v28, v18
	v_mov_b32_e32 v34, v36
	;; [unrolled: 1-line block ×3, first 2 shown]
	v_mul_f32_e32 v18, 0x3f5db3d7, v32
	v_mul_f32_e32 v23, 0xbf5db3d7, v37
	v_pk_add_f32 v[24:25], v[24:25], v[62:63]
	v_pk_add_f32 v[26:27], v[26:27], v[66:67]
	v_fmac_f32_e32 v18, 0.5, v37
	v_fmac_f32_e32 v23, 0.5, v32
	v_pk_mul_f32 v[32:33], v[34:35], 0.5 op_sel_hi:[1,0]
	v_pk_add_f32 v[0:1], v[24:25], v[26:27]
	v_mov_b32_e32 v29, v31
	v_add_f32_e32 v36, v30, v18
	v_add_f32_e32 v37, v19, v23
	v_pk_fma_f32 v[32:33], v[34:35], s[4:5], v[32:33] op_sel:[0,0,1] op_sel_hi:[1,1,0] neg_lo:[0,0,1] neg_hi:[0,0,1]
	ds_write2_b64 v48, v[0:1], v[36:37] offset1:6
	v_pk_add_f32 v[34:35], v[28:29], v[32:33]
	v_pk_add_f32 v[0:1], v[24:25], v[26:27] neg_lo:[0,1] neg_hi:[0,1]
	v_sub_f32_e32 v18, v30, v18
	v_sub_f32_e32 v19, v19, v23
	ds_write2_b64 v48, v[34:35], v[0:1] offset0:12 offset1:18
	v_pk_add_f32 v[0:1], v[28:29], v[32:33] neg_lo:[0,1] neg_hi:[0,1]
	ds_write2_b64 v48, v[18:19], v[0:1] offset0:24 offset1:30
	v_mul_u32_u24_sdwa v0, v11, s10 dst_sel:DWORD dst_unused:UNUSED_PAD src0_sel:WORD_0 src1_sel:DWORD
	v_lshrrev_b32_e32 v56, 21, v0
	v_mul_lo_u16_e32 v0, 36, v56
	v_sub_u16_e32 v57, v11, v0
	v_lshlrev_b32_e32 v0, 4, v57
	s_waitcnt lgkmcnt(0)
	s_barrier
	global_load_dwordx4 v[24:27], v0, s[8:9] offset:240
	v_mul_u32_u24_sdwa v0, v10, s10 dst_sel:DWORD dst_unused:UNUSED_PAD src0_sel:WORD_0 src1_sel:DWORD
	v_lshrrev_b32_e32 v58, 21, v0
	v_mul_lo_u16_e32 v0, 36, v58
	v_sub_u16_e32 v59, v10, v0
	v_lshlrev_b32_e32 v0, 4, v59
	global_load_dwordx4 v[28:31], v0, s[8:9] offset:240
	v_mul_u32_u24_sdwa v0, v8, s10 dst_sel:DWORD dst_unused:UNUSED_PAD src0_sel:WORD_0 src1_sel:DWORD
	v_lshrrev_b32_e32 v60, 21, v0
	v_mul_lo_u16_e32 v0, 36, v60
	v_sub_u16_e32 v61, v8, v0
	v_lshlrev_b32_e32 v0, 4, v61
	global_load_dwordx4 v[32:35], v0, s[8:9] offset:240
	v_mov_b32_e32 v0, 57
	v_mul_lo_u16_sdwa v0, v6, v0 dst_sel:DWORD dst_unused:UNUSED_PAD src0_sel:BYTE_0 src1_sel:DWORD
	v_lshrrev_b16_e32 v62, 11, v0
	v_mul_lo_u16_e32 v0, 36, v62
	v_sub_u16_e32 v63, v6, v0
	v_mov_b32_e32 v64, 4
	v_lshlrev_b32_sdwa v0, v64, v63 dst_sel:DWORD dst_unused:UNUSED_PAD src0_sel:DWORD src1_sel:BYTE_0
	global_load_dwordx4 v[36:39], v0, s[8:9] offset:240
	ds_read2_b64 v[40:43], v14 offset0:2 offset1:245
	ds_read2_b64 v[44:47], v9 offset0:6 offset1:249
	s_mov_b32 s10, 0x5040100
	v_lshl_add_u32 v23, v12, 3, 0
	s_waitcnt vmcnt(3) lgkmcnt(1)
	v_pk_mul_f32 v[0:1], v[42:43], v[24:25] op_sel:[0,1]
	s_nop 0
	v_pk_fma_f32 v[18:19], v[42:43], v[24:25], v[0:1] op_sel:[0,0,1] op_sel_hi:[1,1,0] neg_lo:[0,0,1] neg_hi:[0,0,1]
	v_pk_fma_f32 v[0:1], v[42:43], v[24:25], v[0:1] op_sel:[0,0,1] op_sel_hi:[1,0,0]
	v_lshlrev_b32_sdwa v19, v17, v63 dst_sel:DWORD dst_unused:UNUSED_PAD src0_sel:DWORD src1_sel:BYTE_0
	v_mov_b32_e32 v0, v27
	s_waitcnt lgkmcnt(0)
	v_pk_mul_f32 v[24:25], v[46:47], v[0:1] op_sel_hi:[1,0]
	s_waitcnt vmcnt(2)
	v_mov_b32_e32 v0, v31
	v_pk_fma_f32 v[42:43], v[46:47], v[26:27], v[24:25] op_sel:[0,0,1] op_sel_hi:[1,1,0] neg_lo:[0,0,1] neg_hi:[0,0,1]
	v_pk_fma_f32 v[46:47], v[46:47], v[26:27], v[24:25] op_sel:[0,0,1] op_sel_hi:[1,0,0]
	v_pk_mul_f32 v[24:25], v[28:29], v[40:41] op_sel:[0,1]
	v_mov_b32_e32 v43, v47
	v_pk_fma_f32 v[48:49], v[28:29], v[40:41], v[24:25] op_sel:[0,0,1] op_sel_hi:[1,1,0] neg_lo:[0,0,1] neg_hi:[0,0,1]
	v_pk_fma_f32 v[40:41], v[28:29], v[40:41], v[24:25] op_sel:[0,0,1] op_sel_hi:[1,0,0]
	v_pk_mul_f32 v[24:25], v[44:45], v[0:1] op_sel_hi:[1,0]
	v_mul_u32_u24_e32 v0, 0x360, v62
	v_pk_fma_f32 v[50:51], v[44:45], v[30:31], v[24:25] op_sel:[0,0,1] op_sel_hi:[1,1,0] neg_lo:[0,0,1] neg_hi:[0,0,1]
	v_pk_fma_f32 v[30:31], v[44:45], v[30:31], v[24:25] op_sel:[0,0,1] op_sel_hi:[1,0,0]
	ds_read2_b64 v[24:27], v13 offset0:12 offset1:255
	v_add3_u32 v62, 0, v0, v19
	v_mul_u32_u24_e32 v0, 0x360, v60
	v_lshlrev_b32_e32 v19, 3, v61
	v_add3_u32 v60, 0, v0, v19
	s_waitcnt vmcnt(1) lgkmcnt(0)
	v_pk_mul_f32 v[28:29], v[32:33], v[26:27] op_sel:[0,1]
	v_perm_b32 v0, v56, v58, s10
	v_pk_fma_f32 v[44:45], v[32:33], v[26:27], v[28:29] op_sel:[0,0,1] op_sel_hi:[1,1,0] neg_lo:[0,0,1] neg_hi:[0,0,1]
	v_pk_fma_f32 v[32:33], v[32:33], v[26:27], v[28:29] op_sel:[0,0,1] op_sel_hi:[1,0,0]
	ds_read2_b64 v[26:29], v15 offset0:8 offset1:251
	v_pk_mul_lo_u16 v0, v0, s11 op_sel_hi:[1,0]
	v_mov_b32_e32 v51, v31
	v_and_b32_e32 v19, 0xffe0, v0
	v_lshrrev_b32_e32 v0, 16, v0
	s_waitcnt lgkmcnt(0)
	v_pk_mul_f32 v[52:53], v[34:35], v[28:29] op_sel:[0,1]
	v_mov_b32_e32 v45, v33
	v_pk_fma_f32 v[54:55], v[34:35], v[28:29], v[52:53] op_sel:[0,0,1] op_sel_hi:[1,1,0] neg_lo:[0,0,1] neg_hi:[0,0,1]
	v_pk_fma_f32 v[28:29], v[34:35], v[28:29], v[52:53] op_sel:[0,0,1] op_sel_hi:[1,0,0]
	s_waitcnt vmcnt(0)
	v_pk_mul_f32 v[34:35], v[36:37], v[24:25] op_sel:[0,1]
	v_mov_b32_e32 v55, v29
	v_pk_fma_f32 v[52:53], v[36:37], v[24:25], v[34:35] op_sel:[0,0,1] op_sel_hi:[1,1,0] neg_lo:[0,0,1] neg_hi:[0,0,1]
	v_pk_fma_f32 v[24:25], v[36:37], v[24:25], v[34:35] op_sel:[0,0,1] op_sel_hi:[1,0,0]
	v_pk_mul_f32 v[34:35], v[38:39], v[26:27] op_sel:[0,1]
	v_lshlrev_b32_e32 v24, 3, v59
	v_add3_u32 v56, 0, v19, v24
	v_lshlrev_b32_e32 v19, 3, v57
	v_pk_fma_f32 v[36:37], v[38:39], v[26:27], v[34:35] op_sel:[0,0,1] op_sel_hi:[1,1,0] neg_lo:[0,0,1] neg_hi:[0,0,1]
	v_pk_fma_f32 v[26:27], v[38:39], v[26:27], v[34:35] op_sel:[0,0,1] op_sel_hi:[1,0,0]
	v_add3_u32 v57, 0, v0, v19
	ds_read_b64 v[34:35], v23
	v_mov_b32_e32 v19, v1
	ds_read_b64 v[0:1], v16
	ds_read_b64 v[38:39], v22
	;; [unrolled: 1-line block ×3, first 2 shown]
	v_mov_b32_e32 v53, v25
	v_mov_b32_e32 v37, v27
	v_pk_add_f32 v[26:27], v[52:53], v[36:37]
	s_waitcnt lgkmcnt(0)
	v_pk_add_f32 v[24:25], v[30:31], v[52:53]
	v_pk_fma_f32 v[26:27], v[26:27], 0.5, v[30:31] op_sel_hi:[1,0,1] neg_lo:[1,0,0] neg_hi:[1,0,0]
	v_pk_add_f32 v[30:31], v[52:53], v[36:37] neg_lo:[0,1] neg_hi:[0,1]
	v_pk_add_f32 v[24:25], v[24:25], v[36:37]
	v_pk_mul_f32 v[30:31], v[30:31], s[4:5] op_sel_hi:[1,0]
	s_barrier
	v_pk_add_f32 v[32:33], v[26:27], v[30:31] op_sel:[0,1] op_sel_hi:[1,0]
	v_pk_add_f32 v[26:27], v[26:27], v[30:31] op_sel:[0,1] op_sel_hi:[1,0] neg_lo:[0,1] neg_hi:[0,1]
	v_mov_b32_e32 v30, v32
	v_mov_b32_e32 v31, v27
	ds_write2_b64 v62, v[24:25], v[30:31] offset1:36
	v_pk_add_f32 v[24:25], v[44:45], v[54:55]
	v_pk_add_f32 v[28:29], v[0:1], v[44:45]
	v_pk_fma_f32 v[0:1], v[24:25], 0.5, v[0:1] op_sel_hi:[1,0,1] neg_lo:[1,0,0] neg_hi:[1,0,0]
	v_pk_add_f32 v[24:25], v[44:45], v[54:55] neg_lo:[0,1] neg_hi:[0,1]
	v_mov_b32_e32 v27, v33
	v_pk_mul_f32 v[24:25], v[24:25], s[4:5] op_sel_hi:[1,0]
	ds_write_b64 v62, v[26:27] offset:576
	v_pk_add_f32 v[26:27], v[0:1], v[24:25] op_sel:[0,1] op_sel_hi:[1,0]
	v_pk_add_f32 v[0:1], v[0:1], v[24:25] op_sel:[0,1] op_sel_hi:[1,0] neg_lo:[0,1] neg_hi:[0,1]
	v_mov_b32_e32 v49, v41
	v_pk_add_f32 v[28:29], v[28:29], v[54:55]
	v_mov_b32_e32 v24, v26
	v_mov_b32_e32 v25, v1
	;; [unrolled: 1-line block ×3, first 2 shown]
	ds_write2_b64 v60, v[28:29], v[24:25] offset1:36
	ds_write_b64 v60, v[0:1] offset:576
	v_pk_add_f32 v[0:1], v[48:49], v[50:51]
	v_pk_add_f32 v[24:25], v[48:49], v[50:51] neg_lo:[0,1] neg_hi:[0,1]
	v_pk_fma_f32 v[0:1], v[0:1], 0.5, v[38:39] op_sel_hi:[1,0,1] neg_lo:[1,0,0] neg_hi:[1,0,0]
	v_pk_mul_f32 v[24:25], v[24:25], s[4:5] op_sel_hi:[1,0]
	v_pk_add_f32 v[46:47], v[34:35], v[18:19]
	v_pk_add_f32 v[26:27], v[0:1], v[24:25] op_sel:[0,1] op_sel_hi:[1,0]
	v_pk_add_f32 v[0:1], v[0:1], v[24:25] op_sel:[0,1] op_sel_hi:[1,0] neg_lo:[0,1] neg_hi:[0,1]
	v_pk_add_f32 v[40:41], v[38:39], v[48:49]
	v_mov_b32_e32 v25, v1
	v_mov_b32_e32 v1, v27
	ds_write_b64 v56, v[0:1] offset:576
	v_pk_add_f32 v[0:1], v[18:19], v[42:43]
	v_pk_add_f32 v[18:19], v[18:19], v[42:43] neg_lo:[0,1] neg_hi:[0,1]
	v_pk_add_f32 v[40:41], v[40:41], v[50:51]
	v_mov_b32_e32 v24, v26
	v_pk_fma_f32 v[0:1], v[0:1], 0.5, v[34:35] op_sel_hi:[1,0,1] neg_lo:[1,0,0] neg_hi:[1,0,0]
	v_pk_mul_f32 v[18:19], v[18:19], s[4:5] op_sel_hi:[1,0]
	ds_write2_b64 v56, v[40:41], v[24:25] offset1:36
	v_pk_add_f32 v[24:25], v[0:1], v[18:19] op_sel:[0,1] op_sel_hi:[1,0]
	v_pk_add_f32 v[0:1], v[0:1], v[18:19] op_sel:[0,1] op_sel_hi:[1,0] neg_lo:[0,1] neg_hi:[0,1]
	v_lshrrev_b16_e32 v32, 2, v8
	v_mov_b32_e32 v19, v1
	v_mov_b32_e32 v1, v25
	ds_write_b64 v57, v[0:1] offset:576
	v_lshrrev_b16_e32 v0, 2, v11
	v_mul_u32_u24_e32 v0, 0x4bdb, v0
	v_mul_u32_u24_e32 v32, 0x4bdb, v32
	v_lshrrev_b32_e32 v0, 19, v0
	v_lshrrev_b32_e32 v52, 19, v32
	v_mul_lo_u16_e32 v1, 0x6c, v0
	v_mul_lo_u16_e32 v32, 0x6c, v52
	v_pk_add_f32 v[46:47], v[46:47], v[42:43]
	v_mov_b32_e32 v18, v24
	v_sub_u16_e32 v1, v11, v1
	v_sub_u16_e32 v53, v8, v32
	ds_write2_b64 v57, v[46:47], v[18:19] offset1:36
	v_lshlrev_b32_e32 v18, 4, v1
	v_lshlrev_b32_e32 v32, 4, v53
	s_waitcnt lgkmcnt(0)
	s_barrier
	global_load_dwordx4 v[24:27], v18, s[8:9] offset:816
	v_mov_b32_e32 v36, 19
	global_load_dwordx4 v[32:35], v32, s[8:9] offset:816
	v_lshrrev_b16_e32 v18, 2, v10
	v_mul_u32_u24_e32 v18, 0x4bdb, v18
	v_lshrrev_b32_e32 v18, 19, v18
	v_mul_lo_u16_e32 v19, 0x6c, v18
	v_sub_u16_e32 v19, v10, v19
	v_lshlrev_b32_e32 v28, 4, v19
	global_load_dwordx4 v[28:31], v28, s[8:9] offset:816
	v_mul_lo_u16_sdwa v36, v6, v36 dst_sel:DWORD dst_unused:UNUSED_PAD src0_sel:BYTE_0 src1_sel:DWORD
	v_lshrrev_b16_e32 v54, 11, v36
	v_mul_lo_u16_e32 v36, 0x6c, v54
	v_sub_u16_e32 v55, v6, v36
	v_lshlrev_b32_sdwa v36, v64, v55 dst_sel:DWORD dst_unused:UNUSED_PAD src0_sel:DWORD src1_sel:BYTE_0
	global_load_dwordx4 v[36:39], v36, s[8:9] offset:816
	ds_read2_b64 v[40:43], v13 offset0:12 offset1:255
	ds_read2_b64 v[44:47], v15 offset0:8 offset1:251
	;; [unrolled: 1-line block ×3, first 2 shown]
	s_movk_i32 s11, 0xa20
	v_mul_u32_u24_e32 v54, 0xa20, v54
	v_lshlrev_b32_sdwa v17, v17, v55 dst_sel:DWORD dst_unused:UNUSED_PAD src0_sel:DWORD src1_sel:BYTE_0
	v_mul_u32_u24_e32 v52, 0xa20, v52
	v_lshlrev_b32_e32 v53, 3, v53
	v_perm_b32 v0, v0, v18, s10
	v_add3_u32 v17, 0, v54, v17
	v_add3_u32 v56, 0, v52, v53
	v_pk_mul_lo_u16 v0, v0, s11 op_sel_hi:[1,0]
	ds_read2_b64 v[52:55], v9 offset0:6 offset1:249
	v_and_b32_e32 v18, 0xffe0, v0
	v_lshrrev_b32_e32 v0, 16, v0
	v_lshlrev_b32_e32 v1, 3, v1
	v_lshlrev_b32_e32 v19, 3, v19
	v_add3_u32 v58, 0, v0, v1
	v_add3_u32 v57, 0, v18, v19
	s_movk_i32 s10, 0x6523
	s_waitcnt vmcnt(3) lgkmcnt(1)
	v_pk_mul_f32 v[0:1], v[50:51], v[24:25] op_sel:[0,1]
	s_nop 0
	v_pk_fma_f32 v[18:19], v[50:51], v[24:25], v[0:1] op_sel:[0,0,1] op_sel_hi:[1,1,0] neg_lo:[0,0,1] neg_hi:[0,0,1]
	v_pk_fma_f32 v[0:1], v[50:51], v[24:25], v[0:1] op_sel:[0,0,1] op_sel_hi:[1,0,0]
	s_nop 0
	v_mov_b32_e32 v0, v27
	v_mov_b32_e32 v19, v1
	s_waitcnt lgkmcnt(0)
	v_pk_mul_f32 v[0:1], v[54:55], v[0:1] op_sel_hi:[1,0]
	s_nop 0
	v_pk_fma_f32 v[24:25], v[54:55], v[26:27], v[0:1] op_sel:[0,0,1] op_sel_hi:[1,1,0] neg_lo:[0,0,1] neg_hi:[0,0,1]
	v_pk_fma_f32 v[0:1], v[54:55], v[26:27], v[0:1] op_sel:[0,0,1] op_sel_hi:[1,0,0]
	s_nop 0
	v_mov_b32_e32 v25, v1
	s_waitcnt vmcnt(1)
	v_pk_mul_f32 v[0:1], v[28:29], v[48:49] op_sel:[0,1]
	s_nop 0
	v_pk_fma_f32 v[26:27], v[28:29], v[48:49], v[0:1] op_sel:[0,0,1] op_sel_hi:[1,1,0] neg_lo:[0,0,1] neg_hi:[0,0,1]
	v_pk_fma_f32 v[0:1], v[28:29], v[48:49], v[0:1] op_sel:[0,0,1] op_sel_hi:[1,0,0]
	s_nop 0
	v_mov_b32_e32 v0, v31
	v_pk_mul_f32 v[28:29], v[52:53], v[0:1] op_sel_hi:[1,0]
	v_mov_b32_e32 v27, v1
	v_pk_fma_f32 v[48:49], v[52:53], v[30:31], v[28:29] op_sel:[0,0,1] op_sel_hi:[1,1,0] neg_lo:[0,0,1] neg_hi:[0,0,1]
	v_pk_fma_f32 v[28:29], v[52:53], v[30:31], v[28:29] op_sel:[0,0,1] op_sel_hi:[1,0,0]
	v_pk_mul_f32 v[30:31], v[32:33], v[42:43] op_sel:[0,1]
	v_mov_b32_e32 v49, v29
	v_pk_fma_f32 v[50:51], v[32:33], v[42:43], v[30:31] op_sel:[0,0,1] op_sel_hi:[1,1,0] neg_lo:[0,0,1] neg_hi:[0,0,1]
	v_pk_fma_f32 v[30:31], v[32:33], v[42:43], v[30:31] op_sel:[0,0,1] op_sel_hi:[1,0,0]
	v_pk_mul_f32 v[32:33], v[34:35], v[46:47] op_sel:[0,1]
	v_mov_b32_e32 v51, v31
	v_pk_fma_f32 v[42:43], v[34:35], v[46:47], v[32:33] op_sel:[0,0,1] op_sel_hi:[1,1,0] neg_lo:[0,0,1] neg_hi:[0,0,1]
	v_pk_fma_f32 v[32:33], v[34:35], v[46:47], v[32:33] op_sel:[0,0,1] op_sel_hi:[1,0,0]
	s_waitcnt vmcnt(0)
	v_pk_mul_f32 v[34:35], v[36:37], v[40:41] op_sel:[0,1]
	v_mov_b32_e32 v43, v33
	v_pk_fma_f32 v[46:47], v[36:37], v[40:41], v[34:35] op_sel:[0,0,1] op_sel_hi:[1,1,0] neg_lo:[0,0,1] neg_hi:[0,0,1]
	v_pk_fma_f32 v[34:35], v[36:37], v[40:41], v[34:35] op_sel:[0,0,1] op_sel_hi:[1,0,0]
	v_pk_mul_f32 v[36:37], v[38:39], v[44:45] op_sel:[0,1]
	ds_read_b64 v[40:41], v23
	v_pk_fma_f32 v[52:53], v[38:39], v[44:45], v[36:37] op_sel:[0,0,1] op_sel_hi:[1,1,0] neg_lo:[0,0,1] neg_hi:[0,0,1]
	v_pk_fma_f32 v[36:37], v[38:39], v[44:45], v[36:37] op_sel:[0,0,1] op_sel_hi:[1,0,0]
	ds_read_b64 v[38:39], v16
	ds_read_b64 v[44:45], v22
	ds_read_b64 v[0:1], v20
	v_mov_b32_e32 v47, v35
	v_mov_b32_e32 v53, v37
	v_pk_add_f32 v[34:35], v[46:47], v[52:53]
	s_waitcnt lgkmcnt(0)
	v_pk_add_f32 v[32:33], v[0:1], v[46:47]
	v_pk_fma_f32 v[0:1], v[34:35], 0.5, v[0:1] op_sel_hi:[1,0,1] neg_lo:[1,0,0] neg_hi:[1,0,0]
	v_pk_add_f32 v[34:35], v[46:47], v[52:53] neg_lo:[0,1] neg_hi:[0,1]
	v_pk_add_f32 v[32:33], v[32:33], v[52:53]
	v_pk_mul_f32 v[34:35], v[34:35], s[4:5] op_sel_hi:[1,0]
	s_barrier
	v_pk_add_f32 v[36:37], v[0:1], v[34:35] op_sel:[0,1] op_sel_hi:[1,0]
	v_pk_add_f32 v[0:1], v[0:1], v[34:35] op_sel:[0,1] op_sel_hi:[1,0] neg_lo:[0,1] neg_hi:[0,1]
	v_mov_b32_e32 v34, v36
	v_mov_b32_e32 v35, v1
	;; [unrolled: 1-line block ×3, first 2 shown]
	ds_write2_b64 v17, v[32:33], v[34:35] offset1:108
	ds_write_b64 v17, v[0:1] offset:1728
	v_pk_add_f32 v[0:1], v[50:51], v[42:43]
	v_pk_add_f32 v[32:33], v[50:51], v[42:43] neg_lo:[0,1] neg_hi:[0,1]
	v_pk_fma_f32 v[0:1], v[0:1], 0.5, v[38:39] op_sel_hi:[1,0,1] neg_lo:[1,0,0] neg_hi:[1,0,0]
	v_pk_mul_f32 v[32:33], v[32:33], s[4:5] op_sel_hi:[1,0]
	v_pk_add_f32 v[28:29], v[44:45], v[26:27]
	v_pk_add_f32 v[34:35], v[0:1], v[32:33] op_sel:[0,1] op_sel_hi:[1,0]
	v_pk_add_f32 v[0:1], v[0:1], v[32:33] op_sel:[0,1] op_sel_hi:[1,0] neg_lo:[0,1] neg_hi:[0,1]
	v_pk_add_f32 v[30:31], v[38:39], v[50:51]
	v_mov_b32_e32 v33, v1
	v_mov_b32_e32 v1, v35
	ds_write_b64 v56, v[0:1] offset:1728
	v_pk_add_f32 v[0:1], v[26:27], v[48:49]
	v_pk_add_f32 v[26:27], v[26:27], v[48:49] neg_lo:[0,1] neg_hi:[0,1]
	v_pk_add_f32 v[30:31], v[30:31], v[42:43]
	v_mov_b32_e32 v32, v34
	v_pk_fma_f32 v[0:1], v[0:1], 0.5, v[44:45] op_sel_hi:[1,0,1] neg_lo:[1,0,0] neg_hi:[1,0,0]
	v_pk_mul_f32 v[26:27], v[26:27], s[4:5] op_sel_hi:[1,0]
	ds_write2_b64 v56, v[30:31], v[32:33] offset1:108
	v_pk_add_f32 v[30:31], v[0:1], v[26:27] op_sel:[0,1] op_sel_hi:[1,0]
	v_pk_add_f32 v[0:1], v[0:1], v[26:27] op_sel:[0,1] op_sel_hi:[1,0] neg_lo:[0,1] neg_hi:[0,1]
	v_pk_add_f32 v[54:55], v[40:41], v[18:19]
	v_mov_b32_e32 v27, v1
	v_mov_b32_e32 v1, v31
	ds_write_b64 v57, v[0:1] offset:1728
	v_pk_add_f32 v[0:1], v[18:19], v[24:25]
	v_pk_add_f32 v[18:19], v[18:19], v[24:25] neg_lo:[0,1] neg_hi:[0,1]
	v_pk_fma_f32 v[0:1], v[0:1], 0.5, v[40:41] op_sel_hi:[1,0,1] neg_lo:[1,0,0] neg_hi:[1,0,0]
	v_pk_mul_f32 v[18:19], v[18:19], s[4:5] op_sel_hi:[1,0]
	v_pk_add_f32 v[54:55], v[54:55], v[24:25]
	v_pk_add_f32 v[24:25], v[0:1], v[18:19] op_sel:[0,1] op_sel_hi:[1,0]
	v_pk_add_f32 v[0:1], v[0:1], v[18:19] op_sel:[0,1] op_sel_hi:[1,0] neg_lo:[0,1] neg_hi:[0,1]
	v_pk_add_f32 v[28:29], v[28:29], v[48:49]
	v_mov_b32_e32 v26, v30
	v_mov_b32_e32 v19, v1
	;; [unrolled: 1-line block ×3, first 2 shown]
	ds_write2_b64 v57, v[28:29], v[26:27] offset1:108
	ds_write_b64 v58, v[0:1] offset:1728
	v_mul_u32_u24_sdwa v0, v11, s10 dst_sel:DWORD dst_unused:UNUSED_PAD src0_sel:WORD_0 src1_sel:DWORD
	v_lshrrev_b32_e32 v0, 23, v0
	v_mul_lo_u16_e32 v0, 0x144, v0
	v_sub_u16_e32 v11, v11, v0
	v_mov_b32_e32 v18, v24
	v_lshlrev_b32_e32 v0, 4, v11
	ds_write2_b64 v58, v[54:55], v[18:19] offset1:108
	s_waitcnt lgkmcnt(0)
	s_barrier
	global_load_dwordx4 v[24:27], v0, s[8:9] offset:2544
	v_mul_u32_u24_sdwa v0, v10, s10 dst_sel:DWORD dst_unused:UNUSED_PAD src0_sel:WORD_0 src1_sel:DWORD
	v_lshrrev_b32_e32 v17, 23, v0
	v_mul_lo_u16_e32 v0, 0x144, v17
	v_sub_u16_e32 v64, v10, v0
	v_lshlrev_b32_e32 v0, 4, v64
	global_load_dwordx4 v[28:31], v0, s[8:9] offset:2544
	v_lshlrev_b32_e32 v0, 1, v6
	v_mov_b32_e32 v1, 0
	v_lshl_add_u64 v[18:19], v[0:1], 3, s[8:9]
	global_load_dwordx4 v[32:35], v[18:19], off offset:2544
	s_movk_i32 s10, 0x51
	v_add_u32_e32 v0, 0xffffffaf, v6
	v_cmp_gt_u32_e32 vcc, s10, v6
	s_movk_i32 s10, 0x50
	v_mul_u32_u24_e32 v17, 0x1e60, v17
	v_cndmask_b32_e32 v65, v0, v8, vcc
	v_lshlrev_b32_e32 v0, 1, v65
	v_lshl_add_u64 v[36:37], v[0:1], 3, s[8:9]
	global_load_dwordx4 v[36:39], v[36:37], off offset:2544
	ds_read2_b64 v[40:43], v14 offset0:2 offset1:245
	ds_read2_b64 v[44:47], v9 offset0:6 offset1:249
	v_cmp_lt_u32_e32 vcc, s10, v6
	v_lshl_add_u32 v11, v11, 3, 0
	s_movk_i32 s10, 0x1000
	s_waitcnt vmcnt(3) lgkmcnt(1)
	v_pk_mul_f32 v[48:49], v[42:43], v[24:25] op_sel:[0,1]
	v_mov_b32_e32 v0, v27
	v_pk_fma_f32 v[50:51], v[42:43], v[24:25], v[48:49] op_sel:[0,0,1] op_sel_hi:[1,1,0] neg_lo:[0,0,1] neg_hi:[0,0,1]
	v_pk_fma_f32 v[42:43], v[42:43], v[24:25], v[48:49] op_sel:[0,0,1] op_sel_hi:[1,0,0]
	s_waitcnt lgkmcnt(0)
	v_pk_mul_f32 v[24:25], v[46:47], v[0:1] op_sel_hi:[1,0]
	v_mov_b32_e32 v51, v43
	v_pk_fma_f32 v[48:49], v[46:47], v[26:27], v[24:25] op_sel:[0,0,1] op_sel_hi:[1,1,0] neg_lo:[0,0,1] neg_hi:[0,0,1]
	v_pk_fma_f32 v[46:47], v[46:47], v[26:27], v[24:25] op_sel:[0,0,1] op_sel_hi:[1,0,0]
	s_waitcnt vmcnt(2)
	v_pk_mul_f32 v[24:25], v[28:29], v[40:41] op_sel:[0,1]
	v_mov_b32_e32 v0, v31
	v_pk_fma_f32 v[52:53], v[28:29], v[40:41], v[24:25] op_sel:[0,0,1] op_sel_hi:[1,1,0] neg_lo:[0,0,1] neg_hi:[0,0,1]
	v_pk_fma_f32 v[40:41], v[28:29], v[40:41], v[24:25] op_sel:[0,0,1] op_sel_hi:[1,0,0]
	v_pk_mul_f32 v[24:25], v[44:45], v[0:1] op_sel_hi:[1,0]
	v_mov_b32_e32 v0, 0x1e60
	v_pk_fma_f32 v[54:55], v[44:45], v[30:31], v[24:25] op_sel:[0,0,1] op_sel_hi:[1,1,0] neg_lo:[0,0,1] neg_hi:[0,0,1]
	v_pk_fma_f32 v[44:45], v[44:45], v[30:31], v[24:25] op_sel:[0,0,1] op_sel_hi:[1,0,0]
	ds_read2_b64 v[24:27], v13 offset0:12 offset1:255
	v_cndmask_b32_e32 v0, 0, v0, vcc
	v_mov_b32_e32 v53, v41
	v_mov_b32_e32 v55, v45
	;; [unrolled: 1-line block ×3, first 2 shown]
	s_waitcnt vmcnt(1) lgkmcnt(0)
	v_pk_mul_f32 v[28:29], v[32:33], v[24:25] op_sel:[0,1]
	v_add_co_u32_e32 v18, vcc, s10, v18
	v_pk_fma_f32 v[56:57], v[32:33], v[24:25], v[28:29] op_sel:[0,0,1] op_sel_hi:[1,1,0] neg_lo:[0,0,1] neg_hi:[0,0,1]
	v_pk_fma_f32 v[24:25], v[32:33], v[24:25], v[28:29] op_sel:[0,0,1] op_sel_hi:[1,0,0]
	ds_read2_b64 v[28:31], v15 offset0:8 offset1:251
	v_mov_b32_e32 v57, v25
	v_addc_co_u32_e32 v19, vcc, 0, v19, vcc
	s_waitcnt lgkmcnt(0)
	v_pk_mul_f32 v[32:33], v[34:35], v[28:29] op_sel:[0,1]
	s_nop 0
	v_pk_fma_f32 v[58:59], v[34:35], v[28:29], v[32:33] op_sel:[0,0,1] op_sel_hi:[1,1,0] neg_lo:[0,0,1] neg_hi:[0,0,1]
	v_pk_fma_f32 v[28:29], v[34:35], v[28:29], v[32:33] op_sel:[0,0,1] op_sel_hi:[1,0,0]
	s_waitcnt vmcnt(0)
	v_pk_mul_f32 v[32:33], v[36:37], v[26:27] op_sel:[0,1]
	v_mov_b32_e32 v59, v29
	v_pk_fma_f32 v[34:35], v[36:37], v[26:27], v[32:33] op_sel:[0,0,1] op_sel_hi:[1,1,0] neg_lo:[0,0,1] neg_hi:[0,0,1]
	v_pk_fma_f32 v[26:27], v[36:37], v[26:27], v[32:33] op_sel:[0,0,1] op_sel_hi:[1,0,0]
	v_pk_mul_f32 v[32:33], v[38:39], v[30:31] op_sel:[0,1]
	v_pk_add_f32 v[24:25], v[56:57], v[58:59]
	v_pk_fma_f32 v[36:37], v[38:39], v[30:31], v[32:33] op_sel:[0,0,1] op_sel_hi:[1,1,0] neg_lo:[0,0,1] neg_hi:[0,0,1]
	v_pk_fma_f32 v[30:31], v[38:39], v[30:31], v[32:33] op_sel:[0,0,1] op_sel_hi:[1,0,0]
	ds_read_b64 v[32:33], v20
	ds_read_b64 v[28:29], v16
	;; [unrolled: 1-line block ×3, first 2 shown]
	v_pk_add_f32 v[60:61], v[56:57], v[58:59] neg_lo:[0,1] neg_hi:[0,1]
	v_lshlrev_b32_e32 v26, 3, v65
	v_pk_mul_f32 v[60:61], v[60:61], s[4:5] op_sel_hi:[1,0]
	s_waitcnt lgkmcnt(2)
	v_pk_fma_f32 v[24:25], v[24:25], 0.5, v[32:33] op_sel_hi:[1,0,1] neg_lo:[1,0,0] neg_hi:[1,0,0]
	v_add3_u32 v0, 0, v0, v26
	v_lshlrev_b32_e32 v26, 3, v64
	v_mov_b32_e32 v35, v27
	v_pk_add_f32 v[62:63], v[24:25], v[60:61] op_sel:[0,1] op_sel_hi:[1,0]
	v_pk_add_f32 v[24:25], v[24:25], v[60:61] op_sel:[0,1] op_sel_hi:[1,0] neg_lo:[0,1] neg_hi:[0,1]
	v_pk_add_f32 v[32:33], v[32:33], v[56:57]
	v_add3_u32 v17, 0, v17, v26
	v_mov_b32_e32 v37, v31
	s_waitcnt lgkmcnt(1)
	v_pk_add_f32 v[26:27], v[28:29], v[34:35]
	v_pk_add_f32 v[32:33], v[32:33], v[58:59]
	;; [unrolled: 1-line block ×3, first 2 shown]
	v_mov_b32_e32 v30, v62
	v_mov_b32_e32 v31, v25
	;; [unrolled: 1-line block ×3, first 2 shown]
	ds_read_b64 v[42:43], v23
	s_waitcnt lgkmcnt(0)
	s_barrier
	ds_write_b64 v20, v[32:33]
	ds_write_b64 v20, v[30:31] offset:2592
	ds_write_b64 v20, v[24:25] offset:5184
	ds_write_b64 v0, v[26:27]
	v_pk_add_f32 v[24:25], v[34:35], v[36:37]
	v_pk_add_f32 v[26:27], v[34:35], v[36:37] neg_lo:[0,1] neg_hi:[0,1]
	v_pk_fma_f32 v[24:25], v[24:25], 0.5, v[28:29] op_sel_hi:[1,0,1] neg_lo:[1,0,0] neg_hi:[1,0,0]
	v_pk_mul_f32 v[26:27], v[26:27], s[4:5] op_sel_hi:[1,0]
	v_pk_add_f32 v[40:41], v[38:39], v[52:53]
	v_pk_add_f32 v[28:29], v[24:25], v[26:27] op_sel:[0,1] op_sel_hi:[1,0]
	v_pk_add_f32 v[24:25], v[24:25], v[26:27] op_sel:[0,1] op_sel_hi:[1,0] neg_lo:[0,1] neg_hi:[0,1]
	v_mov_b32_e32 v26, v28
	v_mov_b32_e32 v27, v25
	;; [unrolled: 1-line block ×3, first 2 shown]
	v_pk_add_f32 v[40:41], v[40:41], v[54:55]
	ds_write_b64 v0, v[26:27] offset:2592
	ds_write_b64 v0, v[24:25] offset:5184
	ds_write_b64 v17, v[40:41]
	v_pk_add_f32 v[24:25], v[52:53], v[54:55]
	v_pk_add_f32 v[26:27], v[52:53], v[54:55] neg_lo:[0,1] neg_hi:[0,1]
	v_pk_fma_f32 v[24:25], v[24:25], 0.5, v[38:39] op_sel_hi:[1,0,1] neg_lo:[1,0,0] neg_hi:[1,0,0]
	v_pk_mul_f32 v[26:27], v[26:27], s[4:5] op_sel_hi:[1,0]
	v_pk_add_f32 v[46:47], v[42:43], v[50:51]
	v_pk_add_f32 v[28:29], v[24:25], v[26:27] op_sel:[0,1] op_sel_hi:[1,0]
	v_pk_add_f32 v[24:25], v[24:25], v[26:27] op_sel:[0,1] op_sel_hi:[1,0] neg_lo:[0,1] neg_hi:[0,1]
	v_mov_b32_e32 v26, v28
	v_mov_b32_e32 v27, v25
	;; [unrolled: 1-line block ×3, first 2 shown]
	v_pk_add_f32 v[46:47], v[46:47], v[48:49]
	ds_write_b64 v17, v[26:27] offset:2592
	ds_write_b64 v17, v[24:25] offset:5184
	;; [unrolled: 1-line block ×3, first 2 shown]
	v_pk_add_f32 v[24:25], v[50:51], v[48:49]
	v_pk_add_f32 v[26:27], v[50:51], v[48:49] neg_lo:[0,1] neg_hi:[0,1]
	v_pk_fma_f32 v[24:25], v[24:25], 0.5, v[42:43] op_sel_hi:[1,0,1] neg_lo:[1,0,0] neg_hi:[1,0,0]
	v_pk_mul_f32 v[26:27], v[26:27], s[4:5] op_sel_hi:[1,0]
	v_lshlrev_b32_e32 v0, 1, v8
	v_pk_add_f32 v[28:29], v[24:25], v[26:27] op_sel:[0,1] op_sel_hi:[1,0]
	v_pk_add_f32 v[24:25], v[24:25], v[26:27] op_sel:[0,1] op_sel_hi:[1,0] neg_lo:[0,1] neg_hi:[0,1]
	v_mov_b32_e32 v26, v28
	v_mov_b32_e32 v27, v25
	;; [unrolled: 1-line block ×3, first 2 shown]
	ds_write_b64 v11, v[26:27] offset:18144
	ds_write_b64 v11, v[24:25] offset:20736
	s_waitcnt lgkmcnt(0)
	s_barrier
	global_load_dwordx4 v[24:27], v[18:19], off offset:3632
	v_lshl_add_u64 v[18:19], v[0:1], 3, s[8:9]
	v_lshlrev_b32_e32 v0, 1, v10
	v_lshl_add_u64 v[32:33], v[0:1], 3, s[8:9]
	v_lshlrev_b32_e32 v0, 1, v12
	v_lshl_add_u64 v[28:29], v[0:1], 3, s[8:9]
	v_add_co_u32_e32 v28, vcc, s10, v28
	s_nop 1
	v_addc_co_u32_e32 v29, vcc, 0, v29, vcc
	global_load_dwordx4 v[28:31], v[28:29], off offset:3632
	v_add_co_u32_e32 v32, vcc, s10, v32
	s_nop 1
	v_addc_co_u32_e32 v33, vcc, 0, v33, vcc
	global_load_dwordx4 v[32:35], v[32:33], off offset:3632
	;; [unrolled: 4-line block ×3, first 2 shown]
	ds_read2_b64 v[40:43], v13 offset0:12 offset1:255
	ds_read2_b64 v[44:47], v15 offset0:8 offset1:251
	;; [unrolled: 1-line block ×3, first 2 shown]
	ds_read_b64 v[14:15], v20
	v_cmp_ne_u32_e32 vcc, 0, v6
	s_waitcnt vmcnt(3) lgkmcnt(3)
	v_pk_mul_f32 v[18:19], v[24:25], v[40:41] op_sel:[0,1]
	s_nop 0
	v_pk_fma_f32 v[52:53], v[24:25], v[40:41], v[18:19] op_sel:[0,0,1] op_sel_hi:[1,1,0] neg_lo:[0,0,1] neg_hi:[0,0,1]
	v_pk_fma_f32 v[18:19], v[24:25], v[40:41], v[18:19] op_sel:[0,0,1] op_sel_hi:[1,0,0]
	s_waitcnt vmcnt(2)
	v_mov_b32_e32 v0, v31
	v_mov_b32_e32 v53, v19
	s_waitcnt lgkmcnt(2)
	v_pk_mul_f32 v[18:19], v[26:27], v[44:45] op_sel:[0,1]
	s_nop 0
	v_pk_fma_f32 v[40:41], v[26:27], v[44:45], v[18:19] op_sel:[0,0,1] op_sel_hi:[1,1,0] neg_lo:[0,0,1] neg_hi:[0,0,1]
	v_pk_fma_f32 v[18:19], v[26:27], v[44:45], v[18:19] op_sel:[0,0,1] op_sel_hi:[1,0,0]
	ds_read2_b64 v[24:27], v9 offset0:6 offset1:249
	s_waitcnt lgkmcnt(2)
	v_pk_mul_f32 v[44:45], v[50:51], v[28:29] op_sel:[0,1]
	v_mov_b32_e32 v41, v19
	v_pk_fma_f32 v[54:55], v[50:51], v[28:29], v[44:45] op_sel:[0,0,1] op_sel_hi:[1,1,0] neg_lo:[0,0,1] neg_hi:[0,0,1]
	v_pk_fma_f32 v[28:29], v[50:51], v[28:29], v[44:45] op_sel:[0,0,1] op_sel_hi:[1,0,0]
	s_waitcnt lgkmcnt(0)
	v_pk_mul_f32 v[44:45], v[26:27], v[0:1] op_sel_hi:[1,0]
	v_mov_b32_e32 v55, v29
	v_pk_fma_f32 v[50:51], v[26:27], v[30:31], v[44:45] op_sel:[0,0,1] op_sel_hi:[1,1,0] neg_lo:[0,0,1] neg_hi:[0,0,1]
	v_pk_fma_f32 v[26:27], v[26:27], v[30:31], v[44:45] op_sel:[0,0,1] op_sel_hi:[1,0,0]
	s_waitcnt vmcnt(1)
	v_mov_b32_e32 v0, v35
	v_mov_b32_e32 v51, v27
	v_pk_mul_f32 v[26:27], v[32:33], v[48:49] op_sel:[0,1]
	v_pk_add_f32 v[18:19], v[52:53], v[40:41]
	v_pk_fma_f32 v[28:29], v[32:33], v[48:49], v[26:27] op_sel:[0,0,1] op_sel_hi:[1,1,0] neg_lo:[0,0,1] neg_hi:[0,0,1]
	v_pk_fma_f32 v[26:27], v[32:33], v[48:49], v[26:27] op_sel:[0,0,1] op_sel_hi:[1,0,0]
	ds_read_b64 v[30:31], v16
	ds_read_b64 v[44:45], v22
	v_mov_b32_e32 v29, v27
	v_pk_mul_f32 v[26:27], v[24:25], v[0:1] op_sel_hi:[1,0]
	v_pk_fma_f32 v[18:19], v[18:19], 0.5, v[14:15] op_sel_hi:[1,0,1] neg_lo:[1,0,0] neg_hi:[1,0,0]
	v_pk_add_f32 v[14:15], v[14:15], v[52:53]
	v_pk_fma_f32 v[48:49], v[24:25], v[34:35], v[26:27] op_sel:[0,0,1] op_sel_hi:[1,1,0] neg_lo:[0,0,1] neg_hi:[0,0,1]
	v_pk_fma_f32 v[24:25], v[24:25], v[34:35], v[26:27] op_sel:[0,0,1] op_sel_hi:[1,0,0]
	s_waitcnt vmcnt(0)
	v_pk_mul_f32 v[26:27], v[36:37], v[42:43] op_sel:[0,1]
	v_pk_add_f32 v[14:15], v[14:15], v[40:41]
	v_pk_add_f32 v[40:41], v[52:53], v[40:41] neg_lo:[0,1] neg_hi:[0,1]
	v_pk_fma_f32 v[34:35], v[36:37], v[42:43], v[26:27] op_sel:[0,0,1] op_sel_hi:[1,1,0] neg_lo:[0,0,1] neg_hi:[0,0,1]
	v_pk_fma_f32 v[26:27], v[36:37], v[42:43], v[26:27] op_sel:[0,0,1] op_sel_hi:[1,0,0]
	v_pk_mul_f32 v[40:41], v[40:41], s[4:5] op_sel_hi:[1,0]
	v_mov_b32_e32 v35, v27
	v_pk_mul_f32 v[26:27], v[38:39], v[46:47] op_sel:[0,1]
	v_pk_add_f32 v[52:53], v[18:19], v[40:41] op_sel:[0,1] op_sel_hi:[1,0]
	v_pk_add_f32 v[18:19], v[18:19], v[40:41] op_sel:[0,1] op_sel_hi:[1,0] neg_lo:[0,1] neg_hi:[0,1]
	v_pk_fma_f32 v[36:37], v[38:39], v[46:47], v[26:27] op_sel:[0,0,1] op_sel_hi:[1,1,0] neg_lo:[0,0,1] neg_hi:[0,0,1]
	v_pk_fma_f32 v[26:27], v[38:39], v[46:47], v[26:27] op_sel:[0,0,1] op_sel_hi:[1,0,0]
	ds_read_b64 v[40:41], v23
	v_mov_b32_e32 v37, v27
	s_waitcnt lgkmcnt(2)
	v_pk_add_f32 v[26:27], v[30:31], v[34:35]
	s_waitcnt lgkmcnt(0)
	s_barrier
	ds_write_b64 v20, v[14:15]
	v_mov_b32_e32 v14, v52
	v_mov_b32_e32 v15, v19
	v_mov_b32_e32 v19, v53
	v_pk_add_f32 v[26:27], v[26:27], v[36:37]
	ds_write_b64 v20, v[14:15] offset:7776
	ds_write_b64 v20, v[18:19] offset:15552
	ds_write_b64 v16, v[26:27]
	v_pk_add_f32 v[14:15], v[34:35], v[36:37]
	v_pk_add_f32 v[18:19], v[34:35], v[36:37] neg_lo:[0,1] neg_hi:[0,1]
	v_pk_fma_f32 v[14:15], v[14:15], 0.5, v[30:31] op_sel_hi:[1,0,1] neg_lo:[1,0,0] neg_hi:[1,0,0]
	v_pk_mul_f32 v[18:19], v[18:19], s[4:5] op_sel_hi:[1,0]
	v_mov_b32_e32 v49, v25
	v_pk_add_f32 v[26:27], v[14:15], v[18:19] op_sel:[0,1] op_sel_hi:[1,0]
	v_pk_add_f32 v[14:15], v[14:15], v[18:19] op_sel:[0,1] op_sel_hi:[1,0] neg_lo:[0,1] neg_hi:[0,1]
	v_pk_add_f32 v[24:25], v[44:45], v[28:29]
	v_mov_b32_e32 v18, v26
	v_mov_b32_e32 v19, v15
	;; [unrolled: 1-line block ×3, first 2 shown]
	v_pk_add_f32 v[24:25], v[24:25], v[48:49]
	ds_write_b64 v16, v[18:19] offset:7776
	ds_write_b64 v16, v[14:15] offset:15552
	ds_write_b64 v22, v[24:25]
	v_pk_add_f32 v[14:15], v[28:29], v[48:49]
	v_pk_add_f32 v[16:17], v[28:29], v[48:49] neg_lo:[0,1] neg_hi:[0,1]
	v_pk_fma_f32 v[14:15], v[14:15], 0.5, v[44:45] op_sel_hi:[1,0,1] neg_lo:[1,0,0] neg_hi:[1,0,0]
	v_pk_mul_f32 v[16:17], v[16:17], s[4:5] op_sel_hi:[1,0]
	v_pk_add_f32 v[32:33], v[40:41], v[54:55]
	v_pk_add_f32 v[18:19], v[14:15], v[16:17] op_sel:[0,1] op_sel_hi:[1,0]
	v_pk_add_f32 v[14:15], v[14:15], v[16:17] op_sel:[0,1] op_sel_hi:[1,0] neg_lo:[0,1] neg_hi:[0,1]
	v_mov_b32_e32 v16, v18
	v_mov_b32_e32 v17, v15
	;; [unrolled: 1-line block ×3, first 2 shown]
	v_pk_add_f32 v[32:33], v[32:33], v[50:51]
	ds_write_b64 v22, v[16:17] offset:7776
	ds_write_b64 v22, v[14:15] offset:15552
	ds_write_b64 v23, v[32:33]
	v_pk_add_f32 v[14:15], v[54:55], v[50:51]
	v_pk_add_f32 v[16:17], v[54:55], v[50:51] neg_lo:[0,1] neg_hi:[0,1]
	v_pk_fma_f32 v[14:15], v[14:15], 0.5, v[40:41] op_sel_hi:[1,0,1] neg_lo:[1,0,0] neg_hi:[1,0,0]
	v_pk_mul_f32 v[16:17], v[16:17], s[4:5] op_sel_hi:[1,0]
	s_add_u32 s4, s8, 0x5af0
	v_pk_add_f32 v[18:19], v[14:15], v[16:17] op_sel:[0,1] op_sel_hi:[1,0]
	v_pk_add_f32 v[14:15], v[14:15], v[16:17] op_sel:[0,1] op_sel_hi:[1,0] neg_lo:[0,1] neg_hi:[0,1]
	v_mov_b32_e32 v16, v18
	v_mov_b32_e32 v17, v15
	;; [unrolled: 1-line block ×3, first 2 shown]
	ds_write_b64 v23, v[16:17] offset:7776
	ds_write_b64 v23, v[14:15] offset:15552
	s_waitcnt lgkmcnt(0)
	s_barrier
	ds_read_b64 v[18:19], v20
	s_addc_u32 s5, s9, 0
	v_sub_u32_e32 v0, 0, v7
                                        ; implicit-def: $vgpr17
                                        ; implicit-def: $vgpr14_vgpr15
	s_and_saveexec_b64 s[8:9], vcc
	s_xor_b64 s[8:9], exec, s[8:9]
	s_cbranch_execz .LBB0_15
; %bb.14:
	v_mov_b32_e32 v7, v1
	v_lshl_add_u64 v[14:15], v[6:7], 3, s[4:5]
	global_load_dwordx2 v[14:15], v[14:15], off
	ds_read_b64 v[16:17], v0 offset:23328
	v_mov_b32_e32 v25, 0.5
	v_mov_b32_e32 v26, v25
	s_waitcnt lgkmcnt(0)
	v_pk_add_f32 v[28:29], v[16:17], v[18:19]
	v_pk_add_f32 v[16:17], v[18:19], v[16:17] neg_lo:[0,1] neg_hi:[0,1]
	v_mov_b32_e32 v18, v29
	v_mov_b32_e32 v19, v16
	v_pk_mul_f32 v[18:19], v[18:19], 0.5 op_sel_hi:[1,0]
	s_waitcnt vmcnt(0)
	v_mov_b32_e32 v24, v15
	v_mov_b32_e32 v16, v19
	v_mov_b32_e32 v29, v18
	v_mov_b32_e32 v27, v15
	v_pk_mul_f32 v[16:17], v[24:25], v[16:17]
	v_pk_mul_f32 v[30:31], v[14:15], v[18:19] op_sel_hi:[0,1]
	v_pk_fma_f32 v[24:25], v[28:29], v[26:27], v[16:17]
	v_pk_fma_f32 v[26:27], v[28:29], v[26:27], v[16:17] neg_lo:[0,0,1] neg_hi:[0,0,1]
	v_pk_fma_f32 v[16:17], v[14:15], v[18:19], v[24:25] op_sel_hi:[0,1,1] neg_lo:[1,0,0] neg_hi:[1,0,0]
	v_pk_fma_f32 v[14:15], v[14:15], v[18:19], v[26:27] op_sel_hi:[0,1,1] neg_lo:[1,0,0] neg_hi:[1,0,0]
	v_add_f32_e32 v16, v24, v30
                                        ; implicit-def: $vgpr18_vgpr19
.LBB0_15:
	s_or_saveexec_b64 s[8:9], s[8:9]
	v_mul_i32_i24_e32 v1, 0xffffffd8, v8
	s_xor_b64 exec, exec, s[8:9]
	s_cbranch_execz .LBB0_17
; %bb.16:
	s_waitcnt lgkmcnt(0)
	v_mov_b32_e32 v14, v19
	v_pk_add_f32 v[14:15], v[18:19], v[14:15] neg_lo:[0,1] neg_hi:[0,1]
	v_add_f32_e32 v16, v19, v18
	v_mov_b32_e32 v15, 0
	ds_read_b32 v7, v15 offset:11668
	v_mov_b32_e32 v17, v15
	s_waitcnt lgkmcnt(0)
	v_xor_b32_e32 v7, 0x80000000, v7
	ds_write_b32 v15, v7 offset:11668
.LBB0_17:
	s_or_b64 exec, exec, s[8:9]
	v_mov_b32_e32 v9, 0
	s_waitcnt lgkmcnt(0)
	v_lshl_add_u64 v[18:19], v[8:9], 3, s[4:5]
	global_load_dwordx2 v[18:19], v[18:19], off
	v_mov_b32_e32 v11, v9
	v_lshl_add_u64 v[10:11], v[10:11], 3, s[4:5]
	global_load_dwordx2 v[10:11], v[10:11], off
	v_mov_b32_e32 v13, v9
	v_add_u32_e32 v8, 0x3cc, v6
	v_lshl_add_u64 v[12:13], v[12:13], 3, s[4:5]
	v_lshl_add_u64 v[24:25], v[8:9], 3, s[4:5]
	global_load_dwordx2 v[24:25], v[24:25], off
	v_add_u32_e32 v8, 0x4bf, v6
	global_load_dwordx2 v[12:13], v[12:13], off
	ds_write_b64 v20, v[16:17]
	ds_write_b64 v0, v[14:15] offset:23328
	v_add_u32_e32 v1, v21, v1
	v_lshl_add_u64 v[30:31], v[8:9], 3, s[4:5]
	ds_read_b64 v[16:17], v1
	ds_read_b64 v[26:27], v0 offset:21384
	global_load_dwordx2 v[30:31], v[30:31], off
	v_mov_b32_e32 v15, 0.5
	v_mov_b32_e32 v28, v15
	s_waitcnt lgkmcnt(0)
	v_pk_add_f32 v[32:33], v[16:17], v[26:27]
	v_pk_add_f32 v[16:17], v[16:17], v[26:27] neg_lo:[0,1] neg_hi:[0,1]
	v_mov_b32_e32 v26, v33
	v_mov_b32_e32 v27, v16
	v_pk_mul_f32 v[26:27], v[26:27], 0.5 op_sel_hi:[1,0]
	s_waitcnt vmcnt(4)
	v_mov_b32_e32 v29, v19
	v_mov_b32_e32 v33, v26
	;; [unrolled: 1-line block ×4, first 2 shown]
	v_pk_mul_f32 v[28:29], v[32:33], v[28:29]
	s_nop 0
	v_pk_fma_f32 v[32:33], v[14:15], v[16:17], v[28:29] neg_lo:[1,0,0] neg_hi:[1,0,0]
	v_pk_fma_f32 v[16:17], v[14:15], v[16:17], v[28:29]
	v_pk_fma_f32 v[28:29], v[18:19], v[26:27], v[32:33] op_sel_hi:[0,1,1] neg_lo:[1,0,0] neg_hi:[1,0,0]
	v_pk_fma_f32 v[32:33], v[18:19], v[26:27], v[16:17] op_sel_hi:[0,1,1]
	v_pk_fma_f32 v[16:17], v[18:19], v[26:27], v[16:17] op_sel_hi:[0,1,1] neg_lo:[1,0,0] neg_hi:[1,0,0]
	v_mov_b32_e32 v33, v17
	ds_write_b64 v1, v[32:33]
	ds_write_b64 v0, v[28:29] offset:21384
	ds_read_b64 v[16:17], v22
	ds_read_b64 v[18:19], v0 offset:19440
	v_mov_b32_e32 v26, v15
	s_waitcnt vmcnt(3)
	v_mov_b32_e32 v27, v11
	v_mov_b32_e32 v14, v11
	s_waitcnt lgkmcnt(0)
	v_pk_add_f32 v[28:29], v[16:17], v[18:19]
	v_pk_add_f32 v[16:17], v[16:17], v[18:19] neg_lo:[0,1] neg_hi:[0,1]
	v_mov_b32_e32 v18, v29
	v_mov_b32_e32 v19, v16
	v_pk_mul_f32 v[18:19], v[18:19], 0.5 op_sel_hi:[1,0]
	s_nop 0
	v_mov_b32_e32 v29, v18
	v_mov_b32_e32 v16, v19
	v_pk_mul_f32 v[26:27], v[28:29], v[26:27]
	s_nop 0
	v_pk_fma_f32 v[28:29], v[14:15], v[16:17], v[26:27] neg_lo:[1,0,0] neg_hi:[1,0,0]
	v_pk_fma_f32 v[16:17], v[14:15], v[16:17], v[26:27]
	v_pk_fma_f32 v[26:27], v[10:11], v[18:19], v[28:29] op_sel_hi:[0,1,1] neg_lo:[1,0,0] neg_hi:[1,0,0]
	v_pk_fma_f32 v[28:29], v[10:11], v[18:19], v[16:17] op_sel_hi:[0,1,1]
	v_pk_fma_f32 v[10:11], v[10:11], v[18:19], v[16:17] op_sel_hi:[0,1,1] neg_lo:[1,0,0] neg_hi:[1,0,0]
	v_mov_b32_e32 v29, v11
	ds_write_b64 v22, v[28:29]
	ds_write_b64 v0, v[26:27] offset:19440
	ds_read_b64 v[10:11], v23
	ds_read_b64 v[16:17], v0 offset:17496
	v_mov_b32_e32 v18, v15
	s_waitcnt vmcnt(1)
	v_mov_b32_e32 v19, v13
	v_mov_b32_e32 v14, v13
	s_waitcnt lgkmcnt(0)
	v_pk_add_f32 v[26:27], v[10:11], v[16:17]
	v_pk_add_f32 v[10:11], v[10:11], v[16:17] neg_lo:[0,1] neg_hi:[0,1]
	v_mov_b32_e32 v16, v27
	v_mov_b32_e32 v17, v10
	v_pk_mul_f32 v[16:17], v[16:17], 0.5 op_sel_hi:[1,0]
	s_nop 0
	v_mov_b32_e32 v27, v16
	v_mov_b32_e32 v10, v17
	v_pk_mul_f32 v[18:19], v[26:27], v[18:19]
	s_nop 0
	v_pk_fma_f32 v[26:27], v[14:15], v[10:11], v[18:19] neg_lo:[1,0,0] neg_hi:[1,0,0]
	v_pk_fma_f32 v[10:11], v[14:15], v[10:11], v[18:19]
	v_pk_fma_f32 v[18:19], v[12:13], v[16:17], v[26:27] op_sel_hi:[0,1,1] neg_lo:[1,0,0] neg_hi:[1,0,0]
	v_pk_fma_f32 v[26:27], v[12:13], v[16:17], v[10:11] op_sel_hi:[0,1,1]
	v_pk_fma_f32 v[10:11], v[12:13], v[16:17], v[10:11] op_sel_hi:[0,1,1] neg_lo:[1,0,0] neg_hi:[1,0,0]
	v_mov_b32_e32 v27, v11
	ds_write_b64 v23, v[26:27]
	ds_write_b64 v0, v[18:19] offset:17496
	ds_read_b64 v[10:11], v20 offset:7776
	ds_read_b64 v[12:13], v0 offset:15552
	v_mov_b32_e32 v16, v15
	v_mov_b32_e32 v17, v25
	;; [unrolled: 1-line block ×3, first 2 shown]
	s_waitcnt lgkmcnt(0)
	v_pk_add_f32 v[18:19], v[10:11], v[12:13]
	v_pk_add_f32 v[10:11], v[10:11], v[12:13] neg_lo:[0,1] neg_hi:[0,1]
	v_mov_b32_e32 v12, v19
	v_mov_b32_e32 v13, v10
	v_pk_mul_f32 v[12:13], v[12:13], 0.5 op_sel_hi:[1,0]
	s_nop 0
	v_mov_b32_e32 v19, v12
	v_mov_b32_e32 v10, v13
	v_pk_mul_f32 v[16:17], v[18:19], v[16:17]
	s_nop 0
	v_pk_fma_f32 v[18:19], v[14:15], v[10:11], v[16:17] neg_lo:[1,0,0] neg_hi:[1,0,0]
	v_pk_fma_f32 v[10:11], v[14:15], v[10:11], v[16:17]
	v_pk_fma_f32 v[16:17], v[24:25], v[12:13], v[18:19] op_sel_hi:[0,1,1] neg_lo:[1,0,0] neg_hi:[1,0,0]
	v_pk_fma_f32 v[18:19], v[24:25], v[12:13], v[10:11] op_sel_hi:[0,1,1]
	v_pk_fma_f32 v[10:11], v[24:25], v[12:13], v[10:11] op_sel_hi:[0,1,1] neg_lo:[1,0,0] neg_hi:[1,0,0]
	v_mov_b32_e32 v19, v11
	ds_write_b64 v20, v[18:19] offset:7776
	ds_write_b64 v0, v[16:17] offset:15552
	ds_read_b64 v[10:11], v20 offset:9720
	ds_read_b64 v[12:13], v0 offset:13608
	v_mov_b32_e32 v16, v15
	s_waitcnt vmcnt(0)
	v_mov_b32_e32 v17, v31
	v_mov_b32_e32 v14, v31
	s_waitcnt lgkmcnt(0)
	v_pk_add_f32 v[18:19], v[10:11], v[12:13]
	v_pk_add_f32 v[10:11], v[10:11], v[12:13] neg_lo:[0,1] neg_hi:[0,1]
	v_mov_b32_e32 v12, v19
	v_mov_b32_e32 v13, v10
	v_pk_mul_f32 v[12:13], v[12:13], 0.5 op_sel_hi:[1,0]
	s_nop 0
	v_mov_b32_e32 v19, v12
	v_mov_b32_e32 v10, v13
	v_pk_mul_f32 v[16:17], v[18:19], v[16:17]
	s_nop 0
	v_pk_fma_f32 v[18:19], v[14:15], v[10:11], v[16:17] neg_lo:[1,0,0] neg_hi:[1,0,0]
	v_pk_fma_f32 v[10:11], v[14:15], v[10:11], v[16:17]
	v_pk_fma_f32 v[14:15], v[30:31], v[12:13], v[18:19] op_sel_hi:[0,1,1] neg_lo:[1,0,0] neg_hi:[1,0,0]
	v_pk_fma_f32 v[16:17], v[30:31], v[12:13], v[10:11] op_sel_hi:[0,1,1]
	v_pk_fma_f32 v[10:11], v[30:31], v[12:13], v[10:11] op_sel_hi:[0,1,1] neg_lo:[1,0,0] neg_hi:[1,0,0]
	v_mov_b32_e32 v17, v11
	ds_write_b64 v20, v[16:17] offset:9720
	ds_write_b64 v0, v[14:15] offset:13608
	s_waitcnt lgkmcnt(0)
	s_barrier
	s_and_saveexec_b64 s[4:5], s[0:1]
	s_cbranch_execz .LBB0_20
; %bb.18:
	v_lshl_add_u32 v14, v6, 3, 0
	v_mul_lo_u32 v7, s3, v4
	v_mul_lo_u32 v5, s2, v5
	v_mad_u64_u32 v[0:1], s[0:1], s2, v4, 0
	ds_read2_b64 v[10:13], v14 offset1:243
	v_add3_u32 v1, v1, v5, v7
	v_lshl_add_u64 v[0:1], v[0:1], 3, s[6:7]
	v_mov_b32_e32 v7, v9
	v_lshl_add_u64 v[0:1], v[2:3], 3, v[0:1]
	v_lshl_add_u64 v[2:3], v[6:7], 3, v[0:1]
	s_waitcnt lgkmcnt(0)
	global_store_dwordx2 v[2:3], v[10:11], off
	v_add_u32_e32 v2, 0xf00, v14
	ds_read2_b64 v[2:5], v2 offset0:6 offset1:249
	v_add_u32_e32 v8, 0xf3, v6
	v_lshl_add_u64 v[10:11], v[8:9], 3, v[0:1]
	v_add_u32_e32 v8, 0x1e6, v6
	global_store_dwordx2 v[10:11], v[12:13], off
	v_lshl_add_u64 v[10:11], v[8:9], 3, v[0:1]
	s_waitcnt lgkmcnt(0)
	global_store_dwordx2 v[10:11], v[2:3], off
	v_add_u32_e32 v2, 0x1e00, v14
	ds_read2_b64 v[10:13], v2 offset0:12 offset1:255
	v_add_u32_e32 v8, 0x2d9, v6
	v_lshl_add_u64 v[2:3], v[8:9], 3, v[0:1]
	v_add_u32_e32 v8, 0x3cc, v6
	global_store_dwordx2 v[2:3], v[4:5], off
	;; [unrolled: 9-line block ×5, first 2 shown]
	v_lshl_add_u64 v[10:11], v[8:9], 3, v[0:1]
	v_add_u32_e32 v8, 0xa71, v6
	s_movk_i32 s0, 0xf2
	s_waitcnt lgkmcnt(0)
	global_store_dwordx2 v[10:11], v[2:3], off
	v_lshl_add_u64 v[2:3], v[8:9], 3, v[0:1]
	v_cmp_eq_u32_e32 vcc, s0, v6
	global_store_dwordx2 v[2:3], v[4:5], off
	s_and_b64 exec, exec, vcc
	s_cbranch_execz .LBB0_20
; %bb.19:
	v_mov_b32_e32 v2, 0
	ds_read_b64 v[2:3], v2 offset:23328
	v_add_co_u32_e32 v0, vcc, 0x5000, v0
	s_nop 1
	v_addc_co_u32_e32 v1, vcc, 0, v1, vcc
	s_waitcnt lgkmcnt(0)
	global_store_dwordx2 v[0:1], v[2:3], off offset:2848
.LBB0_20:
	s_endpgm
	.section	.rodata,"a",@progbits
	.p2align	6, 0x0
	.amdhsa_kernel fft_rtc_fwd_len2916_factors_6_6_3_3_3_3_wgs_243_tpt_243_halfLds_sp_op_CI_CI_unitstride_sbrr_R2C_dirReg
		.amdhsa_group_segment_fixed_size 0
		.amdhsa_private_segment_fixed_size 0
		.amdhsa_kernarg_size 104
		.amdhsa_user_sgpr_count 2
		.amdhsa_user_sgpr_dispatch_ptr 0
		.amdhsa_user_sgpr_queue_ptr 0
		.amdhsa_user_sgpr_kernarg_segment_ptr 1
		.amdhsa_user_sgpr_dispatch_id 0
		.amdhsa_user_sgpr_kernarg_preload_length 0
		.amdhsa_user_sgpr_kernarg_preload_offset 0
		.amdhsa_user_sgpr_private_segment_size 0
		.amdhsa_uses_dynamic_stack 0
		.amdhsa_enable_private_segment 0
		.amdhsa_system_sgpr_workgroup_id_x 1
		.amdhsa_system_sgpr_workgroup_id_y 0
		.amdhsa_system_sgpr_workgroup_id_z 0
		.amdhsa_system_sgpr_workgroup_info 0
		.amdhsa_system_vgpr_workitem_id 0
		.amdhsa_next_free_vgpr 70
		.amdhsa_next_free_sgpr 28
		.amdhsa_accum_offset 72
		.amdhsa_reserve_vcc 1
		.amdhsa_float_round_mode_32 0
		.amdhsa_float_round_mode_16_64 0
		.amdhsa_float_denorm_mode_32 3
		.amdhsa_float_denorm_mode_16_64 3
		.amdhsa_dx10_clamp 1
		.amdhsa_ieee_mode 1
		.amdhsa_fp16_overflow 0
		.amdhsa_tg_split 0
		.amdhsa_exception_fp_ieee_invalid_op 0
		.amdhsa_exception_fp_denorm_src 0
		.amdhsa_exception_fp_ieee_div_zero 0
		.amdhsa_exception_fp_ieee_overflow 0
		.amdhsa_exception_fp_ieee_underflow 0
		.amdhsa_exception_fp_ieee_inexact 0
		.amdhsa_exception_int_div_zero 0
	.end_amdhsa_kernel
	.text
.Lfunc_end0:
	.size	fft_rtc_fwd_len2916_factors_6_6_3_3_3_3_wgs_243_tpt_243_halfLds_sp_op_CI_CI_unitstride_sbrr_R2C_dirReg, .Lfunc_end0-fft_rtc_fwd_len2916_factors_6_6_3_3_3_3_wgs_243_tpt_243_halfLds_sp_op_CI_CI_unitstride_sbrr_R2C_dirReg
                                        ; -- End function
	.section	.AMDGPU.csdata,"",@progbits
; Kernel info:
; codeLenInByte = 9020
; NumSgprs: 34
; NumVgprs: 70
; NumAgprs: 0
; TotalNumVgprs: 70
; ScratchSize: 0
; MemoryBound: 0
; FloatMode: 240
; IeeeMode: 1
; LDSByteSize: 0 bytes/workgroup (compile time only)
; SGPRBlocks: 4
; VGPRBlocks: 8
; NumSGPRsForWavesPerEU: 34
; NumVGPRsForWavesPerEU: 70
; AccumOffset: 72
; Occupancy: 7
; WaveLimiterHint : 1
; COMPUTE_PGM_RSRC2:SCRATCH_EN: 0
; COMPUTE_PGM_RSRC2:USER_SGPR: 2
; COMPUTE_PGM_RSRC2:TRAP_HANDLER: 0
; COMPUTE_PGM_RSRC2:TGID_X_EN: 1
; COMPUTE_PGM_RSRC2:TGID_Y_EN: 0
; COMPUTE_PGM_RSRC2:TGID_Z_EN: 0
; COMPUTE_PGM_RSRC2:TIDIG_COMP_CNT: 0
; COMPUTE_PGM_RSRC3_GFX90A:ACCUM_OFFSET: 17
; COMPUTE_PGM_RSRC3_GFX90A:TG_SPLIT: 0
	.text
	.p2alignl 6, 3212836864
	.fill 256, 4, 3212836864
	.type	__hip_cuid_1937c0b3d733c57d,@object ; @__hip_cuid_1937c0b3d733c57d
	.section	.bss,"aw",@nobits
	.globl	__hip_cuid_1937c0b3d733c57d
__hip_cuid_1937c0b3d733c57d:
	.byte	0                               ; 0x0
	.size	__hip_cuid_1937c0b3d733c57d, 1

	.ident	"AMD clang version 19.0.0git (https://github.com/RadeonOpenCompute/llvm-project roc-6.4.0 25133 c7fe45cf4b819c5991fe208aaa96edf142730f1d)"
	.section	".note.GNU-stack","",@progbits
	.addrsig
	.addrsig_sym __hip_cuid_1937c0b3d733c57d
	.amdgpu_metadata
---
amdhsa.kernels:
  - .agpr_count:     0
    .args:
      - .actual_access:  read_only
        .address_space:  global
        .offset:         0
        .size:           8
        .value_kind:     global_buffer
      - .offset:         8
        .size:           8
        .value_kind:     by_value
      - .actual_access:  read_only
        .address_space:  global
        .offset:         16
        .size:           8
        .value_kind:     global_buffer
      - .actual_access:  read_only
        .address_space:  global
        .offset:         24
        .size:           8
        .value_kind:     global_buffer
      - .actual_access:  read_only
        .address_space:  global
        .offset:         32
        .size:           8
        .value_kind:     global_buffer
      - .offset:         40
        .size:           8
        .value_kind:     by_value
      - .actual_access:  read_only
        .address_space:  global
        .offset:         48
        .size:           8
        .value_kind:     global_buffer
      - .actual_access:  read_only
        .address_space:  global
        .offset:         56
        .size:           8
        .value_kind:     global_buffer
      - .offset:         64
        .size:           4
        .value_kind:     by_value
      - .actual_access:  read_only
        .address_space:  global
        .offset:         72
        .size:           8
        .value_kind:     global_buffer
      - .actual_access:  read_only
        .address_space:  global
        .offset:         80
        .size:           8
        .value_kind:     global_buffer
      - .actual_access:  read_only
        .address_space:  global
        .offset:         88
        .size:           8
        .value_kind:     global_buffer
      - .actual_access:  write_only
        .address_space:  global
        .offset:         96
        .size:           8
        .value_kind:     global_buffer
    .group_segment_fixed_size: 0
    .kernarg_segment_align: 8
    .kernarg_segment_size: 104
    .language:       OpenCL C
    .language_version:
      - 2
      - 0
    .max_flat_workgroup_size: 243
    .name:           fft_rtc_fwd_len2916_factors_6_6_3_3_3_3_wgs_243_tpt_243_halfLds_sp_op_CI_CI_unitstride_sbrr_R2C_dirReg
    .private_segment_fixed_size: 0
    .sgpr_count:     34
    .sgpr_spill_count: 0
    .symbol:         fft_rtc_fwd_len2916_factors_6_6_3_3_3_3_wgs_243_tpt_243_halfLds_sp_op_CI_CI_unitstride_sbrr_R2C_dirReg.kd
    .uniform_work_group_size: 1
    .uses_dynamic_stack: false
    .vgpr_count:     70
    .vgpr_spill_count: 0
    .wavefront_size: 64
amdhsa.target:   amdgcn-amd-amdhsa--gfx950
amdhsa.version:
  - 1
  - 2
...

	.end_amdgpu_metadata
